;; amdgpu-corpus repo=ROCm/rocFFT kind=compiled arch=gfx906 opt=O3
	.text
	.amdgcn_target "amdgcn-amd-amdhsa--gfx906"
	.amdhsa_code_object_version 6
	.protected	fft_rtc_back_len2016_factors_2_2_2_2_2_3_3_7_wgs_224_tpt_112_halfLds_half_op_CI_CI_sbrr_dirReg ; -- Begin function fft_rtc_back_len2016_factors_2_2_2_2_2_3_3_7_wgs_224_tpt_112_halfLds_half_op_CI_CI_sbrr_dirReg
	.globl	fft_rtc_back_len2016_factors_2_2_2_2_2_3_3_7_wgs_224_tpt_112_halfLds_half_op_CI_CI_sbrr_dirReg
	.p2align	8
	.type	fft_rtc_back_len2016_factors_2_2_2_2_2_3_3_7_wgs_224_tpt_112_halfLds_half_op_CI_CI_sbrr_dirReg,@function
fft_rtc_back_len2016_factors_2_2_2_2_2_3_3_7_wgs_224_tpt_112_halfLds_half_op_CI_CI_sbrr_dirReg: ; @fft_rtc_back_len2016_factors_2_2_2_2_2_3_3_7_wgs_224_tpt_112_halfLds_half_op_CI_CI_sbrr_dirReg
; %bb.0:
	s_load_dwordx4 s[16:19], s[4:5], 0x18
	s_load_dwordx4 s[8:11], s[4:5], 0x0
	;; [unrolled: 1-line block ×3, first 2 shown]
	v_mul_u32_u24_e32 v1, 0x24a, v0
	v_lshrrev_b32_e32 v13, 16, v1
	s_waitcnt lgkmcnt(0)
	s_load_dwordx2 s[20:21], s[16:17], 0x0
	s_load_dwordx2 s[2:3], s[18:19], 0x0
	v_cmp_lt_u64_e64 s[0:1], s[10:11], 2
	v_mov_b32_e32 v7, 0
	v_mov_b32_e32 v5, 0
	v_lshl_add_u32 v9, s6, 1, v13
	v_mov_b32_e32 v10, v7
	s_and_b64 vcc, exec, s[0:1]
	v_mov_b32_e32 v6, 0
	s_cbranch_vccnz .LBB0_8
; %bb.1:
	s_load_dwordx2 s[0:1], s[4:5], 0x10
	s_add_u32 s6, s18, 8
	s_addc_u32 s7, s19, 0
	s_add_u32 s22, s16, 8
	s_addc_u32 s23, s17, 0
	v_mov_b32_e32 v5, 0
	s_waitcnt lgkmcnt(0)
	s_add_u32 s24, s0, 8
	v_mov_b32_e32 v6, 0
	v_mov_b32_e32 v1, v5
	s_addc_u32 s25, s1, 0
	s_mov_b64 s[26:27], 1
	v_mov_b32_e32 v2, v6
.LBB0_2:                                ; =>This Inner Loop Header: Depth=1
	s_load_dwordx2 s[28:29], s[24:25], 0x0
                                        ; implicit-def: $vgpr3_vgpr4
	s_waitcnt lgkmcnt(0)
	v_or_b32_e32 v8, s29, v10
	v_cmp_ne_u64_e32 vcc, 0, v[7:8]
	s_and_saveexec_b64 s[0:1], vcc
	s_xor_b64 s[30:31], exec, s[0:1]
	s_cbranch_execz .LBB0_4
; %bb.3:                                ;   in Loop: Header=BB0_2 Depth=1
	v_cvt_f32_u32_e32 v3, s28
	v_cvt_f32_u32_e32 v4, s29
	s_sub_u32 s0, 0, s28
	s_subb_u32 s1, 0, s29
	v_mac_f32_e32 v3, 0x4f800000, v4
	v_rcp_f32_e32 v3, v3
	v_mul_f32_e32 v3, 0x5f7ffffc, v3
	v_mul_f32_e32 v4, 0x2f800000, v3
	v_trunc_f32_e32 v4, v4
	v_mac_f32_e32 v3, 0xcf800000, v4
	v_cvt_u32_f32_e32 v4, v4
	v_cvt_u32_f32_e32 v3, v3
	v_mul_lo_u32 v8, s0, v4
	v_mul_hi_u32 v11, s0, v3
	v_mul_lo_u32 v14, s1, v3
	v_mul_lo_u32 v12, s0, v3
	v_add_u32_e32 v8, v11, v8
	v_add_u32_e32 v8, v8, v14
	v_mul_hi_u32 v11, v3, v12
	v_mul_lo_u32 v14, v3, v8
	v_mul_hi_u32 v16, v3, v8
	v_mul_hi_u32 v15, v4, v12
	v_mul_lo_u32 v12, v4, v12
	v_mul_hi_u32 v17, v4, v8
	v_add_co_u32_e32 v11, vcc, v11, v14
	v_addc_co_u32_e32 v14, vcc, 0, v16, vcc
	v_mul_lo_u32 v8, v4, v8
	v_add_co_u32_e32 v11, vcc, v11, v12
	v_addc_co_u32_e32 v11, vcc, v14, v15, vcc
	v_addc_co_u32_e32 v12, vcc, 0, v17, vcc
	v_add_co_u32_e32 v8, vcc, v11, v8
	v_addc_co_u32_e32 v11, vcc, 0, v12, vcc
	v_add_co_u32_e32 v3, vcc, v3, v8
	v_addc_co_u32_e32 v4, vcc, v4, v11, vcc
	v_mul_lo_u32 v8, s0, v4
	v_mul_hi_u32 v11, s0, v3
	v_mul_lo_u32 v12, s1, v3
	v_mul_lo_u32 v14, s0, v3
	v_add_u32_e32 v8, v11, v8
	v_add_u32_e32 v8, v8, v12
	v_mul_lo_u32 v15, v3, v8
	v_mul_hi_u32 v16, v3, v14
	v_mul_hi_u32 v17, v3, v8
	;; [unrolled: 1-line block ×3, first 2 shown]
	v_mul_lo_u32 v14, v4, v14
	v_mul_hi_u32 v11, v4, v8
	v_add_co_u32_e32 v15, vcc, v16, v15
	v_addc_co_u32_e32 v16, vcc, 0, v17, vcc
	v_mul_lo_u32 v8, v4, v8
	v_add_co_u32_e32 v14, vcc, v15, v14
	v_addc_co_u32_e32 v12, vcc, v16, v12, vcc
	v_addc_co_u32_e32 v11, vcc, 0, v11, vcc
	v_add_co_u32_e32 v8, vcc, v12, v8
	v_addc_co_u32_e32 v11, vcc, 0, v11, vcc
	v_add_co_u32_e32 v8, vcc, v3, v8
	v_addc_co_u32_e32 v11, vcc, v4, v11, vcc
	v_mad_u64_u32 v[3:4], s[0:1], v9, v11, 0
	v_mul_hi_u32 v12, v9, v8
	v_add_co_u32_e32 v14, vcc, v12, v3
	v_addc_co_u32_e32 v15, vcc, 0, v4, vcc
	v_mad_u64_u32 v[3:4], s[0:1], v10, v8, 0
	v_mad_u64_u32 v[11:12], s[0:1], v10, v11, 0
	v_add_co_u32_e32 v3, vcc, v14, v3
	v_addc_co_u32_e32 v3, vcc, v15, v4, vcc
	v_addc_co_u32_e32 v4, vcc, 0, v12, vcc
	v_add_co_u32_e32 v8, vcc, v3, v11
	v_addc_co_u32_e32 v11, vcc, 0, v4, vcc
	v_mul_lo_u32 v12, s29, v8
	v_mul_lo_u32 v14, s28, v11
	v_mad_u64_u32 v[3:4], s[0:1], s28, v8, 0
	v_add3_u32 v4, v4, v14, v12
	v_sub_u32_e32 v12, v10, v4
	v_mov_b32_e32 v14, s29
	v_sub_co_u32_e32 v3, vcc, v9, v3
	v_subb_co_u32_e64 v12, s[0:1], v12, v14, vcc
	v_subrev_co_u32_e64 v14, s[0:1], s28, v3
	v_subbrev_co_u32_e64 v12, s[0:1], 0, v12, s[0:1]
	v_cmp_le_u32_e64 s[0:1], s29, v12
	v_cndmask_b32_e64 v15, 0, -1, s[0:1]
	v_cmp_le_u32_e64 s[0:1], s28, v14
	v_cndmask_b32_e64 v14, 0, -1, s[0:1]
	v_cmp_eq_u32_e64 s[0:1], s29, v12
	v_cndmask_b32_e64 v12, v15, v14, s[0:1]
	v_add_co_u32_e64 v14, s[0:1], 2, v8
	v_addc_co_u32_e64 v15, s[0:1], 0, v11, s[0:1]
	v_add_co_u32_e64 v16, s[0:1], 1, v8
	v_addc_co_u32_e64 v17, s[0:1], 0, v11, s[0:1]
	v_subb_co_u32_e32 v4, vcc, v10, v4, vcc
	v_cmp_ne_u32_e64 s[0:1], 0, v12
	v_cmp_le_u32_e32 vcc, s29, v4
	v_cndmask_b32_e64 v12, v17, v15, s[0:1]
	v_cndmask_b32_e64 v15, 0, -1, vcc
	v_cmp_le_u32_e32 vcc, s28, v3
	v_cndmask_b32_e64 v3, 0, -1, vcc
	v_cmp_eq_u32_e32 vcc, s29, v4
	v_cndmask_b32_e32 v3, v15, v3, vcc
	v_cmp_ne_u32_e32 vcc, 0, v3
	v_cndmask_b32_e64 v3, v16, v14, s[0:1]
	v_cndmask_b32_e32 v4, v11, v12, vcc
	v_cndmask_b32_e32 v3, v8, v3, vcc
.LBB0_4:                                ;   in Loop: Header=BB0_2 Depth=1
	s_andn2_saveexec_b64 s[0:1], s[30:31]
	s_cbranch_execz .LBB0_6
; %bb.5:                                ;   in Loop: Header=BB0_2 Depth=1
	v_cvt_f32_u32_e32 v3, s28
	s_sub_i32 s30, 0, s28
	v_rcp_iflag_f32_e32 v3, v3
	v_mul_f32_e32 v3, 0x4f7ffffe, v3
	v_cvt_u32_f32_e32 v3, v3
	v_mul_lo_u32 v4, s30, v3
	v_mul_hi_u32 v4, v3, v4
	v_add_u32_e32 v3, v3, v4
	v_mul_hi_u32 v3, v9, v3
	v_mul_lo_u32 v4, v3, s28
	v_add_u32_e32 v8, 1, v3
	v_sub_u32_e32 v4, v9, v4
	v_subrev_u32_e32 v11, s28, v4
	v_cmp_le_u32_e32 vcc, s28, v4
	v_cndmask_b32_e32 v4, v4, v11, vcc
	v_cndmask_b32_e32 v3, v3, v8, vcc
	v_add_u32_e32 v8, 1, v3
	v_cmp_le_u32_e32 vcc, s28, v4
	v_cndmask_b32_e32 v3, v3, v8, vcc
	v_mov_b32_e32 v4, v7
.LBB0_6:                                ;   in Loop: Header=BB0_2 Depth=1
	s_or_b64 exec, exec, s[0:1]
	v_mul_lo_u32 v8, v4, s28
	v_mul_lo_u32 v14, v3, s29
	v_mad_u64_u32 v[11:12], s[0:1], v3, s28, 0
	s_load_dwordx2 s[0:1], s[22:23], 0x0
	s_load_dwordx2 s[28:29], s[6:7], 0x0
	v_add3_u32 v8, v12, v14, v8
	v_sub_co_u32_e32 v9, vcc, v9, v11
	v_subb_co_u32_e32 v8, vcc, v10, v8, vcc
	s_waitcnt lgkmcnt(0)
	v_mul_lo_u32 v10, s0, v8
	v_mul_lo_u32 v11, s1, v9
	v_mad_u64_u32 v[5:6], s[0:1], s0, v9, v[5:6]
	v_mul_lo_u32 v8, s28, v8
	v_mul_lo_u32 v12, s29, v9
	v_mad_u64_u32 v[1:2], s[0:1], s28, v9, v[1:2]
	s_add_u32 s26, s26, 1
	s_addc_u32 s27, s27, 0
	s_add_u32 s6, s6, 8
	v_add3_u32 v2, v12, v2, v8
	s_addc_u32 s7, s7, 0
	v_mov_b32_e32 v8, s10
	s_add_u32 s22, s22, 8
	v_mov_b32_e32 v9, s11
	s_addc_u32 s23, s23, 0
	v_cmp_ge_u64_e32 vcc, s[26:27], v[8:9]
	s_add_u32 s24, s24, 8
	v_add3_u32 v6, v11, v6, v10
	s_addc_u32 s25, s25, 0
	s_cbranch_vccnz .LBB0_9
; %bb.7:                                ;   in Loop: Header=BB0_2 Depth=1
	v_mov_b32_e32 v10, v4
	v_mov_b32_e32 v9, v3
	s_branch .LBB0_2
.LBB0_8:
	v_mov_b32_e32 v1, v5
	v_mov_b32_e32 v3, v9
	;; [unrolled: 1-line block ×4, first 2 shown]
.LBB0_9:
	s_load_dwordx2 s[0:1], s[4:5], 0x28
	s_lshl_b64 s[10:11], s[10:11], 3
	s_add_u32 s4, s18, s10
	s_addc_u32 s5, s19, s11
                                        ; implicit-def: $sgpr18
                                        ; implicit-def: $vgpr7
                                        ; implicit-def: $vgpr9
                                        ; implicit-def: $vgpr8
                                        ; implicit-def: $vgpr12
                                        ; implicit-def: $vgpr11
                                        ; implicit-def: $vgpr10
                                        ; implicit-def: $vgpr15
                                        ; implicit-def: $vgpr16
                                        ; implicit-def: $vgpr17
	s_waitcnt lgkmcnt(0)
	v_cmp_gt_u64_e32 vcc, s[0:1], v[3:4]
	v_cmp_le_u64_e64 s[0:1], s[0:1], v[3:4]
	s_and_saveexec_b64 s[6:7], s[0:1]
	s_xor_b64 s[0:1], exec, s[6:7]
	s_cbranch_execz .LBB0_11
; %bb.10:
	s_mov_b32 s6, 0x2492493
	v_mul_hi_u32 v5, v0, s6
	s_mov_b32 s18, 0
	v_mul_u32_u24_e32 v5, 0x70, v5
	v_sub_u32_e32 v7, v0, v5
	v_add_u32_e32 v9, 0x70, v7
	v_add_u32_e32 v8, 0xe0, v7
	v_add_u32_e32 v12, 0x150, v7
	v_add_u32_e32 v11, 0x1c0, v7
	v_add_u32_e32 v10, 0x230, v7
	v_add_u32_e32 v15, 0x2a0, v7
	v_add_u32_e32 v16, 0x310, v7
	v_or_b32_e32 v17, 0x380, v7
                                        ; implicit-def: $vgpr0
                                        ; implicit-def: $vgpr5_vgpr6
.LBB0_11:
	s_or_saveexec_b64 s[6:7], s[0:1]
	v_mov_b32_e32 v18, s18
	v_mov_b32_e32 v31, s18
	;; [unrolled: 1-line block ×9, first 2 shown]
                                        ; implicit-def: $vgpr28
                                        ; implicit-def: $vgpr22
                                        ; implicit-def: $vgpr46
                                        ; implicit-def: $vgpr21
                                        ; implicit-def: $vgpr45
                                        ; implicit-def: $vgpr20
                                        ; implicit-def: $vgpr44
                                        ; implicit-def: $vgpr19
                                        ; implicit-def: $vgpr42
                                        ; implicit-def: $vgpr27
                                        ; implicit-def: $vgpr41
                                        ; implicit-def: $vgpr26
                                        ; implicit-def: $vgpr40
                                        ; implicit-def: $vgpr24
                                        ; implicit-def: $vgpr39
                                        ; implicit-def: $vgpr23
                                        ; implicit-def: $vgpr38
                                        ; implicit-def: $vgpr25
	s_xor_b64 exec, exec, s[6:7]
	s_cbranch_execz .LBB0_13
; %bb.12:
	s_add_u32 s0, s16, s10
	s_mov_b32 s10, 0x2492493
	v_mul_hi_u32 v7, v0, s10
	s_addc_u32 s1, s17, s11
	s_load_dwordx2 s[0:1], s[0:1], 0x0
	v_lshlrev_b64 v[5:6], 2, v[5:6]
	v_mul_u32_u24_e32 v7, 0x70, v7
	v_sub_u32_e32 v7, v0, v7
	v_mad_u64_u32 v[8:9], s[10:11], s20, v7, 0
	s_waitcnt lgkmcnt(0)
	v_mul_lo_u32 v12, s1, v3
	v_mul_lo_u32 v16, s0, v4
	v_mad_u64_u32 v[10:11], s[0:1], s0, v3, 0
	v_mov_b32_e32 v0, v9
	v_mad_u64_u32 v[14:15], s[0:1], s21, v7, v[0:1]
	v_add3_u32 v11, v11, v16, v12
	v_lshlrev_b64 v[10:11], 2, v[10:11]
	v_mov_b32_e32 v9, v14
	v_mov_b32_e32 v0, s13
	v_add_co_u32_e64 v12, s[0:1], s12, v10
	v_add_u32_e32 v14, 0x3f0, v7
	v_addc_co_u32_e64 v0, s[0:1], v0, v11, s[0:1]
	v_mad_u64_u32 v[10:11], s[0:1], s20, v14, 0
	v_add_co_u32_e64 v54, s[0:1], v12, v5
	v_addc_co_u32_e64 v55, s[0:1], v0, v6, s[0:1]
	v_mov_b32_e32 v0, v11
	v_lshlrev_b64 v[5:6], 2, v[8:9]
	v_mad_u64_u32 v[8:9], s[0:1], s21, v14, v[0:1]
	v_add_u32_e32 v9, 0x70, v7
	v_mad_u64_u32 v[14:15], s[0:1], s20, v9, 0
	v_add_co_u32_e64 v5, s[0:1], v54, v5
	v_mov_b32_e32 v0, v15
	v_addc_co_u32_e64 v6, s[0:1], v55, v6, s[0:1]
	v_mov_b32_e32 v11, v8
	v_mad_u64_u32 v[15:16], s[0:1], s21, v9, v[0:1]
	v_add_u32_e32 v8, 0x460, v7
	v_mad_u64_u32 v[16:17], s[0:1], s20, v8, 0
	v_lshlrev_b64 v[10:11], 2, v[10:11]
	v_add_u32_e32 v12, 0x4d0, v7
	v_add_co_u32_e64 v23, s[0:1], v54, v10
	v_mov_b32_e32 v0, v17
	v_addc_co_u32_e64 v24, s[0:1], v55, v11, s[0:1]
	v_lshlrev_b64 v[10:11], 2, v[14:15]
	v_mad_u64_u32 v[14:15], s[0:1], s21, v8, v[0:1]
	v_add_u32_e32 v8, 0xe0, v7
	v_mad_u64_u32 v[18:19], s[0:1], s20, v8, 0
	v_add_co_u32_e64 v25, s[0:1], v54, v10
	v_mov_b32_e32 v0, v19
	v_addc_co_u32_e64 v26, s[0:1], v55, v11, s[0:1]
	v_mov_b32_e32 v17, v14
	v_mad_u64_u32 v[14:15], s[0:1], s21, v8, v[0:1]
	v_lshlrev_b64 v[10:11], 2, v[16:17]
	v_mad_u64_u32 v[15:16], s[0:1], s20, v12, 0
	v_add_co_u32_e64 v27, s[0:1], v54, v10
	v_mov_b32_e32 v0, v16
	v_addc_co_u32_e64 v28, s[0:1], v55, v11, s[0:1]
	v_mov_b32_e32 v19, v14
	v_mad_u64_u32 v[16:17], s[0:1], s21, v12, v[0:1]
	v_add_u32_e32 v12, 0x150, v7
	v_lshlrev_b64 v[10:11], 2, v[18:19]
	v_mad_u64_u32 v[17:18], s[0:1], s20, v12, 0
	v_add_co_u32_e64 v29, s[0:1], v54, v10
	v_mov_b32_e32 v0, v18
	v_addc_co_u32_e64 v30, s[0:1], v55, v11, s[0:1]
	v_lshlrev_b64 v[10:11], 2, v[15:16]
	v_mad_u64_u32 v[14:15], s[0:1], s21, v12, v[0:1]
	v_add_u32_e32 v19, 0x540, v7
	v_mad_u64_u32 v[15:16], s[0:1], s20, v19, 0
	v_add_co_u32_e64 v34, s[0:1], v54, v10
	v_mov_b32_e32 v18, v14
	v_mov_b32_e32 v0, v16
	v_addc_co_u32_e64 v35, s[0:1], v55, v11, s[0:1]
	v_lshlrev_b64 v[10:11], 2, v[17:18]
	v_mad_u64_u32 v[16:17], s[0:1], s21, v19, v[0:1]
	v_add_co_u32_e64 v36, s[0:1], v54, v10
	v_addc_co_u32_e64 v37, s[0:1], v55, v11, s[0:1]
	v_add_u32_e32 v11, 0x1c0, v7
	v_lshlrev_b64 v[14:15], 2, v[15:16]
	v_mad_u64_u32 v[16:17], s[0:1], s20, v11, 0
	v_add_co_u32_e64 v14, s[0:1], v54, v14
	v_add_u32_e32 v10, 0x5b0, v7
	v_addc_co_u32_e64 v15, s[0:1], v55, v15, s[0:1]
	v_mad_u64_u32 v[38:39], s[0:1], s20, v10, 0
	v_mov_b32_e32 v0, v17
	v_mad_u64_u32 v[17:18], s[0:1], s21, v11, v[0:1]
	v_mov_b32_e32 v0, v39
	global_load_dword v18, v[5:6], off
	global_load_dword v22, v[23:24], off
	;; [unrolled: 1-line block ×8, first 2 shown]
	v_mad_u64_u32 v[14:15], s[0:1], s21, v10, v[0:1]
	v_add_u32_e32 v10, 0x230, v7
	v_lshlrev_b64 v[5:6], 2, v[16:17]
	v_mad_u64_u32 v[15:16], s[0:1], s20, v10, 0
	v_add_co_u32_e64 v5, s[0:1], v54, v5
	v_mov_b32_e32 v39, v14
	v_add_u32_e32 v14, 0x620, v7
	v_addc_co_u32_e64 v6, s[0:1], v55, v6, s[0:1]
	v_mov_b32_e32 v0, v16
	v_mad_u64_u32 v[25:26], s[0:1], s20, v14, 0
	v_mad_u64_u32 v[16:17], s[0:1], s21, v10, v[0:1]
	v_lshlrev_b64 v[23:24], 2, v[38:39]
	v_mov_b32_e32 v0, v26
	v_add_co_u32_e64 v28, s[0:1], v54, v23
	v_addc_co_u32_e64 v29, s[0:1], v55, v24, s[0:1]
	v_lshlrev_b64 v[16:17], 2, v[15:16]
	v_mad_u64_u32 v[14:15], s[0:1], s21, v14, v[0:1]
	v_add_u32_e32 v15, 0x2a0, v7
	v_mad_u64_u32 v[23:24], s[0:1], s20, v15, 0
	v_add_co_u32_e64 v38, s[0:1], v54, v16
	v_mov_b32_e32 v26, v14
	v_mov_b32_e32 v0, v24
	v_addc_co_u32_e64 v39, s[0:1], v55, v17, s[0:1]
	v_lshlrev_b64 v[16:17], 2, v[25:26]
	v_mad_u64_u32 v[24:25], s[0:1], s21, v15, v[0:1]
	v_add_u32_e32 v14, 0x690, v7
	v_mad_u64_u32 v[25:26], s[0:1], s20, v14, 0
	v_add_co_u32_e64 v40, s[0:1], v54, v16
	v_add_u32_e32 v16, 0x310, v7
	v_addc_co_u32_e64 v41, s[0:1], v55, v17, s[0:1]
	v_mov_b32_e32 v0, v26
	v_mad_u64_u32 v[34:35], s[0:1], s20, v16, 0
	v_mad_u64_u32 v[26:27], s[0:1], s21, v14, v[0:1]
	v_lshlrev_b64 v[23:24], 2, v[23:24]
	v_mov_b32_e32 v0, v35
	v_add_co_u32_e64 v42, s[0:1], v54, v23
	v_addc_co_u32_e64 v43, s[0:1], v55, v24, s[0:1]
	v_lshlrev_b64 v[23:24], 2, v[25:26]
	v_mad_u64_u32 v[25:26], s[0:1], s21, v16, v[0:1]
	v_or_b32_e32 v14, 0x700, v7
	v_mad_u64_u32 v[26:27], s[0:1], s20, v14, 0
	v_add_co_u32_e64 v44, s[0:1], v54, v23
	v_mov_b32_e32 v35, v25
	v_mov_b32_e32 v0, v27
	v_addc_co_u32_e64 v45, s[0:1], v55, v24, s[0:1]
	v_lshlrev_b64 v[23:24], 2, v[34:35]
	v_mad_u64_u32 v[34:35], s[0:1], s21, v14, v[0:1]
	v_add_co_u32_e64 v46, s[0:1], v54, v23
	v_mov_b32_e32 v27, v34
	v_addc_co_u32_e64 v47, s[0:1], v55, v24, s[0:1]
	v_lshlrev_b64 v[23:24], 2, v[26:27]
	v_or_b32_e32 v17, 0x380, v7
	v_mad_u64_u32 v[48:49], s[0:1], s20, v17, 0
	v_add_co_u32_e64 v50, s[0:1], v54, v23
	v_add_u32_e32 v14, 0x770, v7
	v_addc_co_u32_e64 v51, s[0:1], v55, v24, s[0:1]
	v_mad_u64_u32 v[52:53], s[0:1], s20, v14, 0
	v_mov_b32_e32 v0, v49
	v_mad_u64_u32 v[25:26], s[0:1], s21, v17, v[0:1]
	v_mov_b32_e32 v0, v53
	global_load_dword v37, v[5:6], off
	global_load_dword v27, v[28:29], off
	;; [unrolled: 1-line block ×8, first 2 shown]
	v_mad_u64_u32 v[28:29], s[0:1], s21, v14, v[0:1]
	v_mov_b32_e32 v49, v25
	v_lshlrev_b64 v[5:6], 2, v[48:49]
	v_mov_b32_e32 v53, v28
	v_add_co_u32_e64 v5, s[0:1], v54, v5
	v_lshlrev_b64 v[28:29], 2, v[52:53]
	v_addc_co_u32_e64 v6, s[0:1], v55, v6, s[0:1]
	v_add_co_u32_e64 v28, s[0:1], v54, v28
	v_addc_co_u32_e64 v29, s[0:1], v55, v29, s[0:1]
	global_load_dword v25, v[28:29], off
	global_load_dword v43, v[5:6], off
	s_waitcnt vmcnt(16)
	v_lshrrev_b32_e32 v28, 16, v22
	s_waitcnt vmcnt(14)
	v_lshrrev_b32_e32 v46, 16, v21
	;; [unrolled: 2-line block ×9, first 2 shown]
.LBB0_13:
	s_or_b64 exec, exec, s[6:7]
	v_and_b32_e32 v0, 1, v13
	v_mov_b32_e32 v5, 0xfc0
	v_cmp_eq_u32_e64 s[0:1], 1, v0
	v_cndmask_b32_e64 v14, 0, v5, s[0:1]
	v_sub_f16_e32 v5, v18, v22
	v_lshrrev_b32_e32 v0, 16, v18
	v_fma_f16 v13, v18, 2.0, -v5
	v_sub_f16_e32 v18, v31, v21
	v_sub_f16_e32 v20, v33, v20
	;; [unrolled: 1-line block ×4, first 2 shown]
	v_fma_f16 v22, v31, 2.0, -v18
	v_fma_f16 v28, v33, 2.0, -v20
	;; [unrolled: 1-line block ×3, first 2 shown]
	v_sub_f16_e32 v27, v37, v27
	v_add_u32_e32 v21, 0, v14
	v_fma_f16 v47, v37, 2.0, -v27
	v_sub_f16_e32 v26, v36, v26
	v_sub_f16_e32 v24, v35, v24
	v_pack_b32_f16 v5, v13, v5
	v_lshl_add_u32 v49, v7, 2, v21
	v_pack_b32_f16 v18, v22, v18
	v_lshl_add_u32 v50, v9, 2, v21
	;; [unrolled: 2-line block ×4, first 2 shown]
	v_fma_f16 v48, v36, 2.0, -v26
	ds_write_b32 v49, v5
	v_fma_f16 v5, v35, 2.0, -v24
	v_sub_f16_e32 v13, v34, v23
	ds_write_b32 v50, v18
	ds_write_b32 v51, v20
	;; [unrolled: 1-line block ×3, first 2 shown]
	v_pack_b32_f16 v19, v47, v27
	v_lshl_add_u32 v47, v11, 2, v21
	v_lshrrev_b32_e32 v31, 16, v31
	v_fma_f16 v18, v34, 2.0, -v13
	s_waitcnt vmcnt(0)
	v_sub_f16_e32 v22, v43, v25
	ds_write_b32 v47, v19
	v_pack_b32_f16 v19, v48, v26
	v_lshl_add_u32 v48, v10, 2, v21
	v_pack_b32_f16 v5, v5, v24
	v_lshl_add_u32 v53, v15, 2, v21
	v_sub_f16_e32 v46, v31, v46
	v_fma_f16 v0, v0, 2.0, -v6
	v_fma_f16 v20, v43, 2.0, -v22
	v_lshlrev_b32_e32 v30, 1, v7
	ds_write_b32 v48, v19
	ds_write_b32 v53, v5
	v_lshlrev_b32_e32 v28, 1, v12
	v_pack_b32_f16 v5, v18, v13
	v_lshl_add_u32 v54, v16, 2, v21
	v_lshlrev_b32_e32 v23, 1, v16
	v_fma_f16 v31, v31, 2.0, -v46
	v_lshlrev_b32_e32 v29, 1, v9
	v_lshlrev_b32_e32 v27, 1, v8
	ds_write_b32 v54, v5
	v_lshlrev_b32_e32 v26, 1, v11
	v_pack_b32_f16 v5, v20, v22
	v_lshl_add_u32 v55, v17, 2, v21
	v_lshlrev_b32_e32 v25, 1, v10
	v_lshlrev_b32_e32 v24, 1, v15
	v_lshlrev_b32_e32 v22, 1, v17
	v_pack_b32_f16 v56, v0, v6
	v_add3_u32 v0, 0, v30, v14
	v_add_u32_e32 v15, v21, v28
	v_sub_u32_e32 v19, v54, v23
	v_pack_b32_f16 v31, v31, v46
	s_load_dwordx2 s[4:5], s[4:5], 0x0
	ds_write_b32 v55, v5
	s_waitcnt lgkmcnt(0)
	s_barrier
	v_add_u32_e32 v13, v21, v30
	v_add_u32_e32 v6, v21, v29
	;; [unrolled: 1-line block ×3, first 2 shown]
	v_sub_u32_e32 v16, v47, v26
	v_sub_u32_e32 v17, v48, v25
	;; [unrolled: 1-line block ×3, first 2 shown]
	ds_read_u16 v57, v15
	ds_read_u16 v58, v16
	;; [unrolled: 1-line block ×5, first 2 shown]
	ds_read_u16 v62, v0 offset:2016
	ds_read_u16 v63, v0 offset:2240
	;; [unrolled: 1-line block ×8, first 2 shown]
	v_sub_u32_e32 v18, v55, v22
	ds_read_u16 v70, v19
	ds_read_u16 v71, v18
	;; [unrolled: 1-line block ×4, first 2 shown]
	ds_read_u16 v74, v0 offset:3808
	s_waitcnt lgkmcnt(0)
	s_barrier
	ds_write_b32 v49, v56
	ds_write_b32 v50, v31
	v_lshrrev_b32_e32 v31, 16, v33
	v_sub_f16_e32 v33, v31, v45
	v_fma_f16 v31, v31, 2.0, -v33
	v_pack_b32_f16 v31, v31, v33
	ds_write_b32 v51, v31
	v_lshrrev_b32_e32 v31, 16, v32
	v_sub_f16_e32 v32, v31, v44
	v_fma_f16 v31, v31, 2.0, -v32
	v_pack_b32_f16 v31, v31, v32
	;; [unrolled: 5-line block ×7, first 2 shown]
	ds_write_b32 v55, v31
	v_and_b32_e32 v31, 1, v7
	v_lshlrev_b32_e32 v32, 2, v31
	s_waitcnt lgkmcnt(0)
	s_barrier
	global_load_dword v32, v32, s[8:9]
	ds_read_u16 v33, v0 offset:2016
	ds_read_u16 v34, v0 offset:2240
	;; [unrolled: 1-line block ×7, first 2 shown]
	ds_read_u16 v40, v13
	s_movk_i32 s0, 0xfc
	s_movk_i32 s1, 0x5fc
	s_mov_b32 s10, 0xbaee
	s_movk_i32 s11, 0x3aee
	s_waitcnt vmcnt(0) lgkmcnt(7)
	v_mul_f16_sdwa v41, v33, v32 dst_sel:DWORD dst_unused:UNUSED_PAD src0_sel:DWORD src1_sel:WORD_1
	v_mul_f16_sdwa v42, v62, v32 dst_sel:DWORD dst_unused:UNUSED_PAD src0_sel:DWORD src1_sel:WORD_1
	;; [unrolled: 1-line block ×8, first 2 shown]
	v_fma_f16 v41, v62, v32, v41
	v_fma_f16 v33, v33, v32, -v42
	s_waitcnt lgkmcnt(6)
	v_mul_f16_sdwa v42, v34, v32 dst_sel:DWORD dst_unused:UNUSED_PAD src0_sel:DWORD src1_sel:WORD_1
	v_fma_f16 v34, v34, v32, -v43
	s_waitcnt lgkmcnt(5)
	v_mul_f16_sdwa v43, v35, v32 dst_sel:DWORD dst_unused:UNUSED_PAD src0_sel:DWORD src1_sel:WORD_1
	;; [unrolled: 3-line block ×6, first 2 shown]
	v_fma_f16 v39, v39, v32, -v48
	ds_read_u16 v48, v0 offset:3584
	ds_read_u16 v49, v0 offset:3808
	ds_read_u16 v50, v15
	ds_read_u16 v51, v16
	ds_read_u16 v52, v17
	ds_read_u16 v53, v20
	ds_read_u16 v54, v5
	ds_read_u16 v55, v6
	v_mul_f16_sdwa v62, v69, v32 dst_sel:DWORD dst_unused:UNUSED_PAD src0_sel:DWORD src1_sel:WORD_1
	v_fma_f16 v42, v63, v32, v42
	v_fma_f16 v43, v64, v32, v43
	s_waitcnt lgkmcnt(7)
	v_mul_f16_sdwa v56, v48, v32 dst_sel:DWORD dst_unused:UNUSED_PAD src0_sel:DWORD src1_sel:WORD_1
	v_fma_f16 v48, v48, v32, -v62
	s_waitcnt lgkmcnt(6)
	v_mul_f16_sdwa v62, v49, v32 dst_sel:DWORD dst_unused:UNUSED_PAD src0_sel:DWORD src1_sel:WORD_1
	v_mul_f16_sdwa v63, v74, v32 dst_sel:DWORD dst_unused:UNUSED_PAD src0_sel:DWORD src1_sel:WORD_1
	v_sub_f16_e32 v41, v61, v41
	v_and_or_b32 v64, v30, s0, v31
	v_fma_f16 v44, v65, v32, v44
	v_fma_f16 v45, v66, v32, v45
	;; [unrolled: 1-line block ×6, first 2 shown]
	v_fma_f16 v32, v49, v32, -v63
	v_fma_f16 v49, v61, 2.0, -v41
	v_lshl_add_u32 v64, v64, 1, v21
	s_movk_i32 s0, 0x1fc
	ds_read_u16 v61, v19
	ds_read_u16 v63, v18
	s_waitcnt lgkmcnt(0)
	s_barrier
	ds_write_b16 v64, v49
	ds_write_b16 v64, v41 offset:4
	v_sub_f16_e32 v41, v73, v42
	v_and_or_b32 v49, v29, s0, v31
	v_fma_f16 v42, v73, 2.0, -v41
	v_lshl_add_u32 v49, v49, 1, v21
	s_movk_i32 s0, 0x3fc
	ds_write_b16 v49, v42
	ds_write_b16 v49, v41 offset:4
	v_sub_f16_e32 v41, v72, v43
	v_and_or_b32 v43, v27, s0, v31
	v_fma_f16 v42, v72, 2.0, -v41
	v_lshl_add_u32 v43, v43, 1, v21
	ds_write_b16 v43, v42
	ds_write_b16 v43, v41 offset:4
	v_sub_f16_e32 v41, v57, v44
	v_and_or_b32 v44, v28, s0, v31
	v_fma_f16 v42, v57, 2.0, -v41
	v_lshl_add_u32 v44, v44, 1, v21
	s_movk_i32 s0, 0x7fc
	ds_write_b16 v44, v42
	ds_write_b16 v44, v41 offset:4
	v_sub_f16_e32 v41, v58, v45
	v_and_or_b32 v45, v26, s0, v31
	v_fma_f16 v42, v58, 2.0, -v41
	v_lshl_add_u32 v45, v45, 1, v21
	ds_write_b16 v45, v42
	ds_write_b16 v45, v41 offset:4
	v_sub_f16_e32 v41, v59, v46
	v_and_or_b32 v46, v25, s1, v31
	v_fma_f16 v42, v59, 2.0, -v41
	v_lshl_add_u32 v46, v46, 1, v21
	;; [unrolled: 6-line block ×4, first 2 shown]
	ds_write_b16 v56, v42
	ds_write_b16 v56, v41 offset:4
	v_sub_f16_e32 v41, v71, v62
	v_and_or_b32 v31, v22, s0, v31
	v_sub_f16_e32 v33, v40, v33
	v_fma_f16 v42, v71, 2.0, -v41
	v_lshl_add_u32 v31, v31, 1, v21
	v_fma_f16 v40, v40, 2.0, -v33
	ds_write_b16 v31, v42
	ds_write_b16 v31, v41 offset:4
	s_waitcnt lgkmcnt(0)
	s_barrier
	ds_read_u16 v41, v15
	ds_read_u16 v42, v16
	;; [unrolled: 1-line block ×5, first 2 shown]
	ds_read_u16 v60, v0 offset:2016
	ds_read_u16 v62, v0 offset:2240
	;; [unrolled: 1-line block ×8, first 2 shown]
	ds_read_u16 v71, v19
	ds_read_u16 v72, v18
	;; [unrolled: 1-line block ×4, first 2 shown]
	ds_read_u16 v75, v0 offset:3808
	s_waitcnt lgkmcnt(0)
	s_barrier
	ds_write_b16 v64, v40
	ds_write_b16 v64, v33 offset:4
	v_sub_f16_e32 v33, v55, v34
	v_fma_f16 v34, v55, 2.0, -v33
	ds_write_b16 v49, v34
	ds_write_b16 v49, v33 offset:4
	v_sub_f16_e32 v33, v54, v35
	v_fma_f16 v34, v54, 2.0, -v33
	;; [unrolled: 4-line block ×7, first 2 shown]
	v_sub_f16_e32 v32, v63, v32
	ds_write_b16 v56, v34
	ds_write_b16 v56, v33 offset:4
	v_fma_f16 v33, v63, 2.0, -v32
	ds_write_b16 v31, v33
	ds_write_b16 v31, v32 offset:4
	v_and_b32_e32 v31, 3, v7
	v_lshlrev_b32_e32 v32, 2, v31
	s_waitcnt lgkmcnt(0)
	s_barrier
	global_load_dword v32, v32, s[8:9] offset:8
	ds_read_u16 v33, v0 offset:2016
	ds_read_u16 v34, v0 offset:2240
	;; [unrolled: 1-line block ×7, first 2 shown]
	ds_read_u16 v40, v13
	s_movk_i32 s0, 0xf8
	v_and_or_b32 v64, v30, s0, v31
	v_lshl_add_u32 v64, v64, 1, v21
	s_movk_i32 s0, 0x1f8
	s_movk_i32 s1, 0x5f8
	s_waitcnt vmcnt(0)
	v_mul_f16_sdwa v44, v60, v32 dst_sel:DWORD dst_unused:UNUSED_PAD src0_sel:DWORD src1_sel:WORD_1
	s_waitcnt lgkmcnt(7)
	v_mul_f16_sdwa v43, v33, v32 dst_sel:DWORD dst_unused:UNUSED_PAD src0_sel:DWORD src1_sel:WORD_1
	v_fma_f16 v33, v33, v32, -v44
	s_waitcnt lgkmcnt(6)
	v_mul_f16_sdwa v44, v34, v32 dst_sel:DWORD dst_unused:UNUSED_PAD src0_sel:DWORD src1_sel:WORD_1
	v_mul_f16_sdwa v45, v62, v32 dst_sel:DWORD dst_unused:UNUSED_PAD src0_sel:DWORD src1_sel:WORD_1
	;; [unrolled: 1-line block ×7, first 2 shown]
	v_fma_f16 v43, v60, v32, v43
	v_fma_f16 v44, v62, v32, v44
	v_fma_f16 v34, v34, v32, -v45
	s_waitcnt lgkmcnt(5)
	v_mul_f16_sdwa v45, v35, v32 dst_sel:DWORD dst_unused:UNUSED_PAD src0_sel:DWORD src1_sel:WORD_1
	v_fma_f16 v35, v35, v32, -v46
	s_waitcnt lgkmcnt(4)
	v_mul_f16_sdwa v46, v36, v32 dst_sel:DWORD dst_unused:UNUSED_PAD src0_sel:DWORD src1_sel:WORD_1
	;; [unrolled: 3-line block ×5, first 2 shown]
	v_fma_f16 v39, v39, v32, -v50
	ds_read_u16 v50, v0 offset:3584
	ds_read_u16 v51, v0 offset:3808
	ds_read_u16 v52, v15
	ds_read_u16 v53, v16
	;; [unrolled: 1-line block ×6, first 2 shown]
	v_mul_f16_sdwa v62, v70, v32 dst_sel:DWORD dst_unused:UNUSED_PAD src0_sel:DWORD src1_sel:WORD_1
	s_waitcnt lgkmcnt(7)
	v_mul_f16_sdwa v61, v50, v32 dst_sel:DWORD dst_unused:UNUSED_PAD src0_sel:DWORD src1_sel:WORD_1
	v_fma_f16 v50, v50, v32, -v62
	s_waitcnt lgkmcnt(6)
	v_mul_f16_sdwa v62, v51, v32 dst_sel:DWORD dst_unused:UNUSED_PAD src0_sel:DWORD src1_sel:WORD_1
	v_mul_f16_sdwa v63, v75, v32 dst_sel:DWORD dst_unused:UNUSED_PAD src0_sel:DWORD src1_sel:WORD_1
	v_sub_f16_e32 v43, v59, v43
	v_fma_f16 v45, v65, v32, v45
	v_fma_f16 v46, v66, v32, v46
	;; [unrolled: 1-line block ×7, first 2 shown]
	v_fma_f16 v32, v51, v32, -v63
	v_fma_f16 v51, v59, 2.0, -v43
	ds_read_u16 v59, v19
	ds_read_u16 v63, v18
	s_waitcnt lgkmcnt(0)
	s_barrier
	ds_write_b16 v64, v51
	ds_write_b16 v64, v43 offset:8
	v_sub_f16_e32 v43, v74, v44
	v_and_or_b32 v51, v29, s0, v31
	v_fma_f16 v44, v74, 2.0, -v43
	v_lshl_add_u32 v51, v51, 1, v21
	s_movk_i32 s0, 0x3f8
	ds_write_b16 v51, v44
	ds_write_b16 v51, v43 offset:8
	v_sub_f16_e32 v43, v73, v45
	v_and_or_b32 v45, v27, s0, v31
	v_fma_f16 v44, v73, 2.0, -v43
	v_lshl_add_u32 v45, v45, 1, v21
	ds_write_b16 v45, v44
	ds_write_b16 v45, v43 offset:8
	v_sub_f16_e32 v43, v41, v46
	v_and_or_b32 v44, v28, s0, v31
	v_fma_f16 v41, v41, 2.0, -v43
	v_lshl_add_u32 v44, v44, 1, v21
	s_movk_i32 s0, 0x7f8
	ds_write_b16 v44, v41
	ds_write_b16 v44, v43 offset:8
	v_sub_f16_e32 v41, v42, v47
	v_and_or_b32 v43, v26, s0, v31
	v_fma_f16 v42, v42, 2.0, -v41
	v_lshl_add_u32 v43, v43, 1, v21
	ds_write_b16 v43, v42
	ds_write_b16 v43, v41 offset:8
	v_sub_f16_e32 v41, v57, v48
	v_and_or_b32 v46, v25, s1, v31
	v_fma_f16 v42, v57, 2.0, -v41
	v_lshl_add_u32 v46, v46, 1, v21
	;; [unrolled: 6-line block ×4, first 2 shown]
	ds_write_b16 v48, v42
	ds_write_b16 v48, v41 offset:8
	v_sub_f16_e32 v41, v72, v62
	v_and_or_b32 v31, v22, s0, v31
	v_sub_f16_e32 v33, v40, v33
	v_fma_f16 v42, v72, 2.0, -v41
	v_lshl_add_u32 v31, v31, 1, v21
	v_fma_f16 v40, v40, 2.0, -v33
	ds_write_b16 v31, v42
	ds_write_b16 v31, v41 offset:8
	s_waitcnt lgkmcnt(0)
	s_barrier
	ds_read_u16 v41, v15
	ds_read_u16 v42, v16
	;; [unrolled: 1-line block ×5, first 2 shown]
	ds_read_u16 v61, v0 offset:2016
	ds_read_u16 v62, v0 offset:2240
	;; [unrolled: 1-line block ×8, first 2 shown]
	ds_read_u16 v71, v19
	ds_read_u16 v72, v18
	;; [unrolled: 1-line block ×4, first 2 shown]
	ds_read_u16 v75, v0 offset:3808
	s_waitcnt lgkmcnt(0)
	s_barrier
	ds_write_b16 v64, v40
	ds_write_b16 v64, v33 offset:8
	v_sub_f16_e32 v33, v60, v34
	v_fma_f16 v34, v60, 2.0, -v33
	ds_write_b16 v51, v34
	ds_write_b16 v51, v33 offset:8
	v_sub_f16_e32 v33, v56, v35
	v_fma_f16 v34, v56, 2.0, -v33
	;; [unrolled: 4-line block ×7, first 2 shown]
	v_sub_f16_e32 v32, v63, v32
	ds_write_b16 v48, v34
	ds_write_b16 v48, v33 offset:8
	v_fma_f16 v33, v63, 2.0, -v32
	ds_write_b16 v31, v33
	ds_write_b16 v31, v32 offset:8
	v_and_b32_e32 v31, 7, v7
	v_lshlrev_b32_e32 v32, 2, v31
	s_waitcnt lgkmcnt(0)
	s_barrier
	global_load_dword v32, v32, s[8:9] offset:24
	ds_read_u16 v33, v0 offset:2016
	ds_read_u16 v34, v0 offset:2240
	;; [unrolled: 1-line block ×7, first 2 shown]
	ds_read_u16 v40, v13
	s_movk_i32 s0, 0xf0
	v_and_or_b32 v64, v30, s0, v31
	v_lshl_add_u32 v64, v64, 1, v21
	s_movk_i32 s0, 0x1f0
	s_movk_i32 s1, 0x5f0
	s_waitcnt vmcnt(0)
	v_mul_f16_sdwa v44, v61, v32 dst_sel:DWORD dst_unused:UNUSED_PAD src0_sel:DWORD src1_sel:WORD_1
	s_waitcnt lgkmcnt(7)
	v_mul_f16_sdwa v43, v33, v32 dst_sel:DWORD dst_unused:UNUSED_PAD src0_sel:DWORD src1_sel:WORD_1
	v_fma_f16 v33, v33, v32, -v44
	s_waitcnt lgkmcnt(6)
	v_mul_f16_sdwa v44, v34, v32 dst_sel:DWORD dst_unused:UNUSED_PAD src0_sel:DWORD src1_sel:WORD_1
	v_mul_f16_sdwa v45, v62, v32 dst_sel:DWORD dst_unused:UNUSED_PAD src0_sel:DWORD src1_sel:WORD_1
	;; [unrolled: 1-line block ×7, first 2 shown]
	v_fma_f16 v43, v61, v32, v43
	v_fma_f16 v44, v62, v32, v44
	v_fma_f16 v34, v34, v32, -v45
	s_waitcnt lgkmcnt(5)
	v_mul_f16_sdwa v45, v35, v32 dst_sel:DWORD dst_unused:UNUSED_PAD src0_sel:DWORD src1_sel:WORD_1
	v_fma_f16 v35, v35, v32, -v46
	s_waitcnt lgkmcnt(4)
	v_mul_f16_sdwa v46, v36, v32 dst_sel:DWORD dst_unused:UNUSED_PAD src0_sel:DWORD src1_sel:WORD_1
	;; [unrolled: 3-line block ×5, first 2 shown]
	v_fma_f16 v39, v39, v32, -v51
	ds_read_u16 v51, v0 offset:3584
	ds_read_u16 v52, v0 offset:3808
	ds_read_u16 v53, v15
	ds_read_u16 v54, v16
	;; [unrolled: 1-line block ×6, first 2 shown]
	v_mul_f16_sdwa v62, v70, v32 dst_sel:DWORD dst_unused:UNUSED_PAD src0_sel:DWORD src1_sel:WORD_1
	s_waitcnt lgkmcnt(7)
	v_mul_f16_sdwa v61, v51, v32 dst_sel:DWORD dst_unused:UNUSED_PAD src0_sel:DWORD src1_sel:WORD_1
	v_fma_f16 v51, v51, v32, -v62
	s_waitcnt lgkmcnt(6)
	v_mul_f16_sdwa v62, v52, v32 dst_sel:DWORD dst_unused:UNUSED_PAD src0_sel:DWORD src1_sel:WORD_1
	v_mul_f16_sdwa v63, v75, v32 dst_sel:DWORD dst_unused:UNUSED_PAD src0_sel:DWORD src1_sel:WORD_1
	v_sub_f16_e32 v43, v58, v43
	v_fma_f16 v45, v65, v32, v45
	v_fma_f16 v46, v66, v32, v46
	;; [unrolled: 1-line block ×7, first 2 shown]
	v_fma_f16 v32, v52, v32, -v63
	v_fma_f16 v52, v58, 2.0, -v43
	ds_read_u16 v58, v19
	ds_read_u16 v63, v18
	s_waitcnt lgkmcnt(0)
	s_barrier
	ds_write_b16 v64, v52
	ds_write_b16 v64, v43 offset:16
	v_sub_f16_e32 v43, v74, v44
	v_and_or_b32 v52, v29, s0, v31
	v_fma_f16 v44, v74, 2.0, -v43
	v_lshl_add_u32 v52, v52, 1, v21
	s_movk_i32 s0, 0x3f0
	ds_write_b16 v52, v44
	ds_write_b16 v52, v43 offset:16
	v_sub_f16_e32 v43, v73, v45
	v_and_or_b32 v45, v27, s0, v31
	v_fma_f16 v44, v73, 2.0, -v43
	v_lshl_add_u32 v45, v45, 1, v21
	ds_write_b16 v45, v44
	ds_write_b16 v45, v43 offset:16
	v_sub_f16_e32 v43, v41, v46
	v_and_or_b32 v44, v28, s0, v31
	v_fma_f16 v41, v41, 2.0, -v43
	v_lshl_add_u32 v44, v44, 1, v21
	s_movk_i32 s0, 0x7f0
	ds_write_b16 v44, v41
	ds_write_b16 v44, v43 offset:16
	v_sub_f16_e32 v41, v42, v47
	v_and_or_b32 v43, v26, s0, v31
	v_fma_f16 v42, v42, 2.0, -v41
	v_lshl_add_u32 v43, v43, 1, v21
	ds_write_b16 v43, v42
	ds_write_b16 v43, v41 offset:16
	v_sub_f16_e32 v41, v49, v48
	v_and_or_b32 v46, v25, s1, v31
	v_fma_f16 v42, v49, 2.0, -v41
	v_lshl_add_u32 v46, v46, 1, v21
	;; [unrolled: 6-line block ×4, first 2 shown]
	ds_write_b16 v48, v42
	ds_write_b16 v48, v41 offset:16
	v_sub_f16_e32 v41, v72, v62
	v_and_or_b32 v31, v22, s0, v31
	v_sub_f16_e32 v33, v40, v33
	v_fma_f16 v42, v72, 2.0, -v41
	v_lshl_add_u32 v31, v31, 1, v21
	v_fma_f16 v40, v40, 2.0, -v33
	ds_write_b16 v31, v42
	ds_write_b16 v31, v41 offset:16
	s_waitcnt lgkmcnt(0)
	s_barrier
	ds_read_u16 v41, v15
	ds_read_u16 v42, v16
	;; [unrolled: 1-line block ×5, first 2 shown]
	ds_read_u16 v61, v0 offset:2016
	ds_read_u16 v62, v0 offset:2240
	;; [unrolled: 1-line block ×8, first 2 shown]
	ds_read_u16 v71, v19
	ds_read_u16 v72, v18
	;; [unrolled: 1-line block ×4, first 2 shown]
	ds_read_u16 v75, v0 offset:3808
	s_waitcnt lgkmcnt(0)
	s_barrier
	ds_write_b16 v64, v40
	ds_write_b16 v64, v33 offset:16
	v_sub_f16_e32 v33, v60, v34
	v_fma_f16 v34, v60, 2.0, -v33
	ds_write_b16 v52, v34
	ds_write_b16 v52, v33 offset:16
	v_sub_f16_e32 v33, v59, v35
	v_fma_f16 v34, v59, 2.0, -v33
	;; [unrolled: 4-line block ×7, first 2 shown]
	v_sub_f16_e32 v32, v63, v32
	ds_write_b16 v48, v34
	ds_write_b16 v48, v33 offset:16
	v_fma_f16 v33, v63, 2.0, -v32
	ds_write_b16 v31, v33
	ds_write_b16 v31, v32 offset:16
	v_and_b32_e32 v31, 15, v7
	v_lshlrev_b32_e32 v32, 2, v31
	s_waitcnt lgkmcnt(0)
	s_barrier
	global_load_dword v32, v32, s[8:9] offset:56
	ds_read_u16 v33, v0 offset:2016
	ds_read_u16 v34, v0 offset:2240
	;; [unrolled: 1-line block ×7, first 2 shown]
	ds_read_u16 v40, v13
	s_movk_i32 s0, 0xe0
	v_and_or_b32 v30, v30, s0, v31
	v_lshl_add_u32 v30, v30, 1, v21
	s_movk_i32 s0, 0x1e0
	v_and_or_b32 v29, v29, s0, v31
	v_lshl_add_u32 v29, v29, 1, v21
	;; [unrolled: 3-line block ×3, first 2 shown]
	v_and_or_b32 v28, v28, s0, v31
	v_lshl_add_u32 v28, v28, 1, v21
	s_movk_i32 s0, 0x7e0
	v_and_or_b32 v26, v26, s0, v31
	v_lshl_add_u32 v26, v26, 1, v21
	s_movk_i32 s1, 0x5e0
	v_and_or_b32 v25, v25, s1, v31
	v_lshl_add_u32 v25, v25, 1, v21
	v_and_or_b32 v24, v24, s0, v31
	v_lshl_add_u32 v24, v24, 1, v21
	;; [unrolled: 2-line block ×4, first 2 shown]
	s_movk_i32 s0, 0x60
	s_waitcnt vmcnt(0)
	v_mul_f16_sdwa v44, v61, v32 dst_sel:DWORD dst_unused:UNUSED_PAD src0_sel:DWORD src1_sel:WORD_1
	s_waitcnt lgkmcnt(7)
	v_mul_f16_sdwa v43, v33, v32 dst_sel:DWORD dst_unused:UNUSED_PAD src0_sel:DWORD src1_sel:WORD_1
	v_fma_f16 v33, v33, v32, -v44
	s_waitcnt lgkmcnt(6)
	v_mul_f16_sdwa v44, v34, v32 dst_sel:DWORD dst_unused:UNUSED_PAD src0_sel:DWORD src1_sel:WORD_1
	v_mul_f16_sdwa v45, v62, v32 dst_sel:DWORD dst_unused:UNUSED_PAD src0_sel:DWORD src1_sel:WORD_1
	v_mul_f16_sdwa v46, v65, v32 dst_sel:DWORD dst_unused:UNUSED_PAD src0_sel:DWORD src1_sel:WORD_1
	v_mul_f16_sdwa v47, v66, v32 dst_sel:DWORD dst_unused:UNUSED_PAD src0_sel:DWORD src1_sel:WORD_1
	v_mul_f16_sdwa v48, v67, v32 dst_sel:DWORD dst_unused:UNUSED_PAD src0_sel:DWORD src1_sel:WORD_1
	v_mul_f16_sdwa v51, v68, v32 dst_sel:DWORD dst_unused:UNUSED_PAD src0_sel:DWORD src1_sel:WORD_1
	v_mul_f16_sdwa v52, v69, v32 dst_sel:DWORD dst_unused:UNUSED_PAD src0_sel:DWORD src1_sel:WORD_1
	v_fma_f16 v43, v61, v32, v43
	v_fma_f16 v44, v62, v32, v44
	v_fma_f16 v34, v34, v32, -v45
	s_waitcnt lgkmcnt(5)
	v_mul_f16_sdwa v45, v35, v32 dst_sel:DWORD dst_unused:UNUSED_PAD src0_sel:DWORD src1_sel:WORD_1
	v_fma_f16 v35, v35, v32, -v46
	s_waitcnt lgkmcnt(4)
	v_mul_f16_sdwa v46, v36, v32 dst_sel:DWORD dst_unused:UNUSED_PAD src0_sel:DWORD src1_sel:WORD_1
	;; [unrolled: 3-line block ×5, first 2 shown]
	v_fma_f16 v39, v39, v32, -v52
	ds_read_u16 v52, v0 offset:3584
	ds_read_u16 v53, v0 offset:3808
	ds_read_u16 v54, v15
	ds_read_u16 v55, v16
	;; [unrolled: 1-line block ×6, first 2 shown]
	v_mul_f16_sdwa v62, v70, v32 dst_sel:DWORD dst_unused:UNUSED_PAD src0_sel:DWORD src1_sel:WORD_1
	s_waitcnt lgkmcnt(7)
	v_mul_f16_sdwa v61, v52, v32 dst_sel:DWORD dst_unused:UNUSED_PAD src0_sel:DWORD src1_sel:WORD_1
	v_fma_f16 v52, v52, v32, -v62
	s_waitcnt lgkmcnt(6)
	v_mul_f16_sdwa v62, v53, v32 dst_sel:DWORD dst_unused:UNUSED_PAD src0_sel:DWORD src1_sel:WORD_1
	v_mul_f16_sdwa v63, v75, v32 dst_sel:DWORD dst_unused:UNUSED_PAD src0_sel:DWORD src1_sel:WORD_1
	v_sub_f16_e32 v43, v57, v43
	v_fma_f16 v45, v65, v32, v45
	v_fma_f16 v46, v66, v32, v46
	;; [unrolled: 1-line block ×7, first 2 shown]
	v_fma_f16 v32, v53, v32, -v63
	v_fma_f16 v53, v57, 2.0, -v43
	ds_read_u16 v57, v19
	ds_read_u16 v63, v18
	s_waitcnt lgkmcnt(0)
	s_barrier
	ds_write_b16 v30, v53
	ds_write_b16 v30, v43 offset:32
	v_sub_f16_e32 v43, v74, v44
	v_fma_f16 v44, v74, 2.0, -v43
	ds_write_b16 v29, v44
	ds_write_b16 v29, v43 offset:32
	v_sub_f16_e32 v43, v73, v45
	v_fma_f16 v44, v73, 2.0, -v43
	;; [unrolled: 4-line block ×7, first 2 shown]
	v_sub_f16_e32 v31, v72, v62
	ds_write_b16 v23, v42
	ds_write_b16 v23, v41 offset:32
	v_fma_f16 v41, v72, 2.0, -v31
	ds_write_b16 v22, v41
	ds_write_b16 v22, v31 offset:32
	v_sub_f16_e32 v31, v40, v33
	v_fma_f16 v33, v40, 2.0, -v31
	s_waitcnt lgkmcnt(0)
	s_barrier
	ds_read_u16 v40, v19
	ds_read_u16 v41, v18
	ds_read_u16 v42, v0 offset:3136
	ds_read_u16 v43, v0 offset:3360
	ds_read_u16 v44, v15
	ds_read_u16 v45, v16
	ds_read_u16 v46, v13
	ds_read_u16 v47, v0 offset:2016
	ds_read_u16 v48, v0 offset:2240
	;; [unrolled: 1-line block ×3, first 2 shown]
	ds_read_u16 v50, v20
	ds_read_u16 v51, v17
	ds_read_u16 v53, v0 offset:2912
	ds_read_u16 v61, v0 offset:2688
	;; [unrolled: 1-line block ×3, first 2 shown]
	ds_read_u16 v64, v5
	ds_read_u16 v65, v6
	ds_read_u16 v66, v0 offset:3808
	s_waitcnt lgkmcnt(0)
	s_barrier
	ds_write_b16 v30, v33
	ds_write_b16 v30, v31 offset:32
	v_sub_f16_e32 v30, v60, v34
	v_fma_f16 v31, v60, 2.0, -v30
	ds_write_b16 v29, v31
	ds_write_b16 v29, v30 offset:32
	v_sub_f16_e32 v29, v59, v35
	v_fma_f16 v30, v59, 2.0, -v29
	ds_write_b16 v27, v30
	ds_write_b16 v27, v29 offset:32
	v_sub_f16_e32 v27, v54, v36
	v_fma_f16 v29, v54, 2.0, -v27
	ds_write_b16 v28, v29
	ds_write_b16 v28, v27 offset:32
	v_sub_f16_e32 v27, v55, v37
	v_fma_f16 v28, v55, 2.0, -v27
	ds_write_b16 v26, v28
	ds_write_b16 v26, v27 offset:32
	v_sub_f16_e32 v26, v56, v38
	v_fma_f16 v27, v56, 2.0, -v26
	ds_write_b16 v25, v27
	ds_write_b16 v25, v26 offset:32
	v_sub_f16_e32 v25, v58, v39
	v_fma_f16 v26, v58, 2.0, -v25
	ds_write_b16 v24, v26
	v_sub_f16_e32 v26, v57, v52
	v_sub_f16_e32 v28, v63, v32
	v_and_b32_e32 v30, 31, v9
	v_fma_f16 v27, v57, 2.0, -v26
	v_fma_f16 v29, v63, 2.0, -v28
	ds_write_b16 v24, v25 offset:32
	ds_write_b16 v23, v27
	ds_write_b16 v23, v26 offset:32
	ds_write_b16 v22, v29
	ds_write_b16 v22, v28 offset:32
	v_lshlrev_b32_e32 v22, 3, v30
	s_waitcnt lgkmcnt(0)
	s_barrier
	global_load_dwordx2 v[22:23], v22, s[8:9] offset:120
	v_and_b32_e32 v31, 31, v12
	v_lshlrev_b32_e32 v24, 3, v31
	global_load_dwordx2 v[24:25], v24, s[8:9] offset:120
	v_and_b32_e32 v34, 31, v10
	v_and_b32_e32 v32, 31, v7
	v_lshlrev_b32_e32 v35, 3, v34
	v_lshlrev_b32_e32 v33, 3, v32
	global_load_dwordx2 v[26:27], v35, s[8:9] offset:120
	global_load_dwordx2 v[28:29], v33, s[8:9] offset:120
	ds_read_u16 v33, v19
	ds_read_u16 v35, v18
	ds_read_u16 v38, v0 offset:2912
	v_lshrrev_b32_e32 v73, 5, v9
	v_mul_lo_u32 v73, v73, s0
	s_waitcnt vmcnt(3) lgkmcnt(2)
	v_mul_f16_sdwa v36, v33, v22 dst_sel:DWORD dst_unused:UNUSED_PAD src0_sel:DWORD src1_sel:WORD_1
	v_fma_f16 v36, v40, v22, v36
	v_mul_f16_sdwa v37, v40, v22 dst_sel:DWORD dst_unused:UNUSED_PAD src0_sel:DWORD src1_sel:WORD_1
	s_waitcnt lgkmcnt(0)
	v_mul_f16_sdwa v40, v38, v23 dst_sel:DWORD dst_unused:UNUSED_PAD src0_sel:DWORD src1_sel:WORD_1
	v_fma_f16 v33, v33, v22, -v37
	ds_read_u16 v22, v0 offset:3136
	ds_read_u16 v37, v0 offset:3360
	;; [unrolled: 1-line block ×3, first 2 shown]
	v_fma_f16 v40, v53, v23, v40
	v_mul_f16_sdwa v52, v53, v23 dst_sel:DWORD dst_unused:UNUSED_PAD src0_sel:DWORD src1_sel:WORD_1
	ds_read_u16 v53, v0 offset:2016
	v_fma_f16 v38, v38, v23, -v52
	ds_read_u16 v23, v0 offset:2240
	ds_read_u16 v52, v0 offset:2464
	ds_read_u16 v54, v13
	s_waitcnt vmcnt(2) lgkmcnt(3)
	v_mul_f16_sdwa v55, v53, v24 dst_sel:DWORD dst_unused:UNUSED_PAD src0_sel:DWORD src1_sel:WORD_1
	v_fma_f16 v55, v47, v24, v55
	v_mul_f16_sdwa v47, v47, v24 dst_sel:DWORD dst_unused:UNUSED_PAD src0_sel:DWORD src1_sel:WORD_1
	v_fma_f16 v47, v53, v24, -v47
	ds_read_u16 v53, v20
	v_mul_f16_sdwa v24, v37, v25 dst_sel:DWORD dst_unused:UNUSED_PAD src0_sel:DWORD src1_sel:WORD_1
	v_fma_f16 v56, v43, v25, v24
	v_mul_f16_sdwa v24, v43, v25 dst_sel:DWORD dst_unused:UNUSED_PAD src0_sel:DWORD src1_sel:WORD_1
	ds_read_u16 v43, v17
	v_fma_f16 v37, v37, v25, -v24
	s_waitcnt vmcnt(0)
	v_mul_f16_sdwa v25, v50, v28 dst_sel:DWORD dst_unused:UNUSED_PAD src0_sel:DWORD src1_sel:WORD_1
	s_waitcnt lgkmcnt(1)
	v_mul_f16_sdwa v24, v53, v28 dst_sel:DWORD dst_unused:UNUSED_PAD src0_sel:DWORD src1_sel:WORD_1
	v_fma_f16 v25, v53, v28, -v25
	v_mul_f16_sdwa v53, v61, v29 dst_sel:DWORD dst_unused:UNUSED_PAD src0_sel:DWORD src1_sel:WORD_1
	v_fma_f16 v24, v50, v28, v24
	v_mul_f16_sdwa v50, v39, v29 dst_sel:DWORD dst_unused:UNUSED_PAD src0_sel:DWORD src1_sel:WORD_1
	v_fma_f16 v39, v39, v29, -v53
	v_mul_f16_sdwa v53, v35, v28 dst_sel:DWORD dst_unused:UNUSED_PAD src0_sel:DWORD src1_sel:WORD_1
	v_fma_f16 v53, v41, v28, v53
	;; [unrolled: 4-line block ×4, first 2 shown]
	v_mul_f16_sdwa v22, v48, v28 dst_sel:DWORD dst_unused:UNUSED_PAD src0_sel:DWORD src1_sel:WORD_1
	v_fma_f16 v50, v61, v29, v50
	v_fma_f16 v28, v23, v28, -v22
	ds_read_u16 v22, v0 offset:3584
	ds_read_u16 v23, v0 offset:3808
	ds_read_u16 v48, v15
	ds_read_u16 v58, v16
	;; [unrolled: 1-line block ×4, first 2 shown]
	s_waitcnt lgkmcnt(5)
	v_mul_f16_sdwa v61, v22, v29 dst_sel:DWORD dst_unused:UNUSED_PAD src0_sel:DWORD src1_sel:WORD_1
	v_fma_f16 v61, v49, v29, v61
	v_mul_f16_sdwa v49, v49, v29 dst_sel:DWORD dst_unused:UNUSED_PAD src0_sel:DWORD src1_sel:WORD_1
	v_fma_f16 v29, v22, v29, -v49
	v_mul_f16_sdwa v22, v52, v26 dst_sel:DWORD dst_unused:UNUSED_PAD src0_sel:DWORD src1_sel:WORD_1
	v_fma_f16 v49, v62, v26, v22
	v_mul_f16_sdwa v22, v62, v26 dst_sel:DWORD dst_unused:UNUSED_PAD src0_sel:DWORD src1_sel:WORD_1
	v_fma_f16 v52, v52, v26, -v22
	s_waitcnt lgkmcnt(4)
	v_mul_f16_sdwa v22, v23, v27 dst_sel:DWORD dst_unused:UNUSED_PAD src0_sel:DWORD src1_sel:WORD_1
	v_fma_f16 v62, v66, v27, v22
	v_mul_f16_sdwa v22, v66, v27 dst_sel:DWORD dst_unused:UNUSED_PAD src0_sel:DWORD src1_sel:WORD_1
	v_fma_f16 v27, v23, v27, -v22
	v_add_f16_e32 v22, v24, v50
	v_fma_f16 v22, v22, -0.5, v46
	v_sub_f16_e32 v23, v25, v39
	v_fma_f16 v26, v23, s10, v22
	v_fma_f16 v22, v23, s11, v22
	v_add_f16_e32 v23, v54, v25
	v_add_f16_e32 v63, v23, v39
	;; [unrolled: 1-line block ×3, first 2 shown]
	v_fma_f16 v23, v23, -0.5, v54
	v_add_f16_e32 v25, v46, v24
	v_sub_f16_e32 v24, v24, v50
	v_fma_f16 v39, v24, s11, v23
	v_fma_f16 v46, v24, s10, v23
	v_add_f16_e32 v23, v36, v40
	v_fma_f16 v23, v23, -0.5, v65
	v_sub_f16_e32 v24, v33, v38
	v_add_f16_e32 v25, v25, v50
	v_fma_f16 v50, v24, s10, v23
	v_fma_f16 v23, v24, s11, v23
	v_add_f16_e32 v24, v53, v41
	v_fma_f16 v24, v24, -0.5, v64
	v_sub_f16_e32 v54, v35, v42
	v_fma_f16 v66, v54, s10, v24
	v_fma_f16 v24, v54, s11, v24
	v_add_f16_e32 v54, v55, v56
	v_fma_f16 v54, v54, -0.5, v44
	v_sub_f16_e32 v67, v47, v37
	;; [unrolled: 5-line block ×4, first 2 shown]
	v_fma_f16 v72, v71, s10, v69
	v_fma_f16 v69, v71, s11, v69
	v_lshrrev_b32_e32 v71, 5, v7
	v_mul_u32_u24_e32 v71, 0x60, v71
	v_or_b32_e32 v71, v71, v32
	v_lshl_add_u32 v71, v71, 1, v21
	s_waitcnt lgkmcnt(0)
	s_barrier
	ds_write_b16 v71, v25
	ds_write_b16 v71, v26 offset:64
	ds_write_b16 v71, v22 offset:128
	v_or_b32_e32 v22, v73, v30
	v_lshl_add_u32 v30, v22, 1, v21
	v_lshrrev_b32_e32 v22, 5, v8
	v_mul_lo_u32 v22, v22, s0
	v_add_f16_e32 v25, v65, v36
	v_add_f16_e32 v25, v25, v40
	ds_write_b16 v30, v25
	ds_write_b16 v30, v50 offset:64
	v_or_b32_e32 v22, v22, v32
	v_lshl_add_u32 v50, v22, 1, v21
	v_lshrrev_b32_e32 v22, 5, v12
	v_mul_lo_u32 v22, v22, s0
	ds_write_b16 v30, v23 offset:128
	v_add_f16_e32 v23, v64, v53
	v_add_f16_e32 v23, v23, v41
	v_or_b32_e32 v22, v22, v31
	v_lshl_add_u32 v31, v22, 1, v21
	v_lshrrev_b32_e32 v22, 5, v11
	v_mul_lo_u32 v22, v22, s0
	ds_write_b16 v50, v23
	ds_write_b16 v50, v66 offset:64
	ds_write_b16 v50, v24 offset:128
	v_add_f16_e32 v23, v44, v55
	v_add_f16_e32 v23, v23, v56
	v_or_b32_e32 v22, v22, v32
	v_lshl_add_u32 v32, v22, 1, v21
	v_lshrrev_b32_e32 v22, 5, v10
	v_mul_lo_u32 v22, v22, s0
	ds_write_b16 v31, v23
	ds_write_b16 v31, v68 offset:64
	ds_write_b16 v31, v54 offset:128
	v_add_f16_e32 v23, v45, v57
	v_add_f16_e32 v23, v23, v61
	v_or_b32_e32 v22, v22, v34
	v_lshl_add_u32 v34, v22, 1, v21
	v_add_f16_e32 v21, v51, v49
	v_add_f16_e32 v21, v21, v62
	ds_write_b16 v32, v23
	ds_write_b16 v32, v70 offset:64
	ds_write_b16 v32, v67 offset:128
	ds_write_b16 v34, v21
	ds_write_b16 v34, v72 offset:64
	ds_write_b16 v34, v69 offset:128
	s_waitcnt lgkmcnt(0)
	s_barrier
	ds_read_u16 v45, v19
	ds_read_u16 v51, v18
	ds_read_u16 v54, v0 offset:3136
	ds_read_u16 v64, v0 offset:3360
	ds_read_u16 v23, v15
	ds_read_u16 v21, v16
	;; [unrolled: 1-line block ×3, first 2 shown]
	ds_read_u16 v65, v0 offset:2016
	ds_read_u16 v66, v0 offset:2240
	;; [unrolled: 1-line block ×3, first 2 shown]
	ds_read_u16 v44, v20
	ds_read_u16 v22, v17
	ds_read_u16 v68, v0 offset:2912
	ds_read_u16 v69, v0 offset:2688
	;; [unrolled: 1-line block ×3, first 2 shown]
	ds_read_u16 v24, v5
	ds_read_u16 v26, v6
	ds_read_u16 v73, v0 offset:3808
	s_waitcnt lgkmcnt(0)
	s_barrier
	ds_write_b16 v71, v63
	ds_write_b16 v71, v39 offset:64
	ds_write_b16 v71, v46 offset:128
	v_add_f16_e32 v39, v60, v33
	v_add_f16_e32 v33, v33, v38
	v_fma_f16 v33, v33, -0.5, v60
	v_sub_f16_e32 v36, v36, v40
	v_add_f16_e32 v39, v39, v38
	v_fma_f16 v38, v36, s11, v33
	v_fma_f16 v33, v36, s10, v33
	ds_write_b16 v30, v39
	ds_write_b16 v30, v38 offset:64
	ds_write_b16 v30, v33 offset:128
	v_add_f16_e32 v33, v35, v42
	v_add_f16_e32 v30, v59, v35
	v_fma_f16 v33, v33, -0.5, v59
	v_sub_f16_e32 v35, v53, v41
	v_add_f16_e32 v30, v30, v42
	v_fma_f16 v36, v35, s11, v33
	v_fma_f16 v33, v35, s10, v33
	ds_write_b16 v50, v30
	ds_write_b16 v50, v36 offset:64
	ds_write_b16 v50, v33 offset:128
	v_add_f16_e32 v30, v48, v47
	v_add_f16_e32 v33, v47, v37
	;; [unrolled: 1-line block ×3, first 2 shown]
	v_fma_f16 v33, v33, -0.5, v48
	v_sub_f16_e32 v35, v55, v56
	v_fma_f16 v36, v35, s11, v33
	v_fma_f16 v33, v35, s10, v33
	ds_write_b16 v31, v30
	ds_write_b16 v31, v36 offset:64
	ds_write_b16 v31, v33 offset:128
	v_add_f16_e32 v30, v58, v28
	v_add_f16_e32 v28, v28, v29
	v_add_f16_e32 v30, v30, v29
	v_fma_f16 v28, v28, -0.5, v58
	v_sub_f16_e32 v29, v57, v61
	v_fma_f16 v31, v29, s11, v28
	v_fma_f16 v28, v29, s10, v28
	v_add_f16_e32 v29, v43, v52
	v_add_f16_e32 v29, v29, v27
	;; [unrolled: 1-line block ×3, first 2 shown]
	v_fma_f16 v27, v27, -0.5, v43
	v_sub_f16_e32 v33, v49, v62
	v_fma_f16 v35, v33, s11, v27
	v_fma_f16 v27, v33, s10, v27
	ds_write_b16 v32, v30
	ds_write_b16 v32, v31 offset:64
	ds_write_b16 v32, v28 offset:128
	ds_write_b16 v34, v29
	ds_write_b16 v34, v35 offset:64
	ds_write_b16 v34, v27 offset:128
	v_add_u32_e32 v27, 0xffffffa0, v7
	v_cmp_gt_u32_e64 s[0:1], s0, v7
	v_cndmask_b32_e64 v27, v27, v7, s[0:1]
	v_lshlrev_b32_e32 v27, 1, v27
	v_mov_b32_e32 v28, 0
	v_lshlrev_b64 v[28:29], 2, v[27:28]
	v_mov_b32_e32 v30, s9
	v_add_co_u32_e64 v28, s[0:1], s8, v28
	v_addc_co_u32_e64 v29, s[0:1], v30, v29, s[0:1]
	s_movk_i32 s0, 0xab
	s_waitcnt lgkmcnt(0)
	s_barrier
	global_load_dwordx2 v[28:29], v[28:29], off offset:376
	v_mul_lo_u16_sdwa v30, v9, s0 dst_sel:DWORD dst_unused:UNUSED_PAD src0_sel:BYTE_0 src1_sel:DWORD
	s_mov_b32 s0, 0xaaab
	v_mul_u32_u24_sdwa v32, v8, s0 dst_sel:DWORD dst_unused:UNUSED_PAD src0_sel:WORD_0 src1_sel:DWORD
	v_lshrrev_b16_e32 v41, 14, v30
	v_lshrrev_b32_e32 v61, 22, v32
	v_mul_lo_u16_e32 v30, 0x60, v41
	v_mul_lo_u16_e32 v32, 0x60, v61
	v_sub_u16_e32 v43, v9, v30
	v_mov_b32_e32 v30, 3
	v_sub_u16_e32 v62, v8, v32
	v_lshlrev_b32_sdwa v30, v30, v43 dst_sel:DWORD dst_unused:UNUSED_PAD src0_sel:DWORD src1_sel:BYTE_0
	v_lshlrev_b32_e32 v32, 3, v62
	global_load_dwordx2 v[36:37], v32, s[8:9] offset:376
	v_mul_u32_u24_sdwa v32, v12, s0 dst_sel:DWORD dst_unused:UNUSED_PAD src0_sel:WORD_0 src1_sel:DWORD
	global_load_dwordx2 v[30:31], v30, s[8:9] offset:376
	v_lshrrev_b32_e32 v63, 22, v32
	v_mul_lo_u16_e32 v32, 0x60, v63
	v_sub_u16_e32 v71, v12, v32
	v_mul_u32_u24_sdwa v32, v10, s0 dst_sel:DWORD dst_unused:UNUSED_PAD src0_sel:WORD_0 src1_sel:DWORD
	v_lshrrev_b32_e32 v76, 22, v32
	v_mul_lo_u16_e32 v32, 0x60, v76
	v_sub_u16_e32 v10, v10, v32
	v_lshlrev_b32_e32 v12, 3, v71
	v_lshlrev_b32_e32 v32, 3, v10
	global_load_dwordx2 v[39:40], v12, s[8:9] offset:376
	global_load_dwordx2 v[58:59], v32, s[8:9] offset:376
	v_mul_u32_u24_sdwa v12, v11, s0 dst_sel:DWORD dst_unused:UNUSED_PAD src0_sel:WORD_0 src1_sel:DWORD
	v_lshrrev_b32_e32 v74, 22, v12
	v_mul_lo_u16_e32 v12, 0x60, v74
	v_sub_u16_e32 v75, v11, v12
	v_lshlrev_b32_e32 v11, 3, v75
	global_load_dwordx2 v[11:12], v11, s[8:9] offset:376
	ds_read_u16 v33, v20
	ds_read_u16 v20, v17
	s_movk_i32 s0, 0x5f
	v_cmp_lt_u32_e64 s[0:1], s0, v7
	v_lshlrev_b32_e32 v10, 1, v10
	s_waitcnt vmcnt(5) lgkmcnt(1)
	v_mul_f16_sdwa v17, v33, v28 dst_sel:DWORD dst_unused:UNUSED_PAD src0_sel:DWORD src1_sel:WORD_1
	v_fma_f16 v32, v44, v28, v17
	v_mul_f16_sdwa v17, v44, v28 dst_sel:DWORD dst_unused:UNUSED_PAD src0_sel:DWORD src1_sel:WORD_1
	v_fma_f16 v33, v33, v28, -v17
	ds_read_u16 v17, v0 offset:2688
	ds_read_u16 v28, v0 offset:2912
	;; [unrolled: 1-line block ×6, first 2 shown]
	ds_read_u16 v19, v19
	v_mul_f16_sdwa v35, v69, v29 dst_sel:DWORD dst_unused:UNUSED_PAD src0_sel:DWORD src1_sel:WORD_1
	s_waitcnt lgkmcnt(6)
	v_mul_f16_sdwa v34, v17, v29 dst_sel:DWORD dst_unused:UNUSED_PAD src0_sel:DWORD src1_sel:WORD_1
	v_fma_f16 v44, v17, v29, -v35
	ds_read_u16 v17, v18
	v_fma_f16 v34, v69, v29, v34
	s_waitcnt vmcnt(3)
	v_mul_f16_sdwa v29, v45, v30 dst_sel:DWORD dst_unused:UNUSED_PAD src0_sel:DWORD src1_sel:WORD_1
	s_waitcnt lgkmcnt(1)
	v_mul_f16_sdwa v18, v19, v30 dst_sel:DWORD dst_unused:UNUSED_PAD src0_sel:DWORD src1_sel:WORD_1
	v_fma_f16 v35, v19, v30, -v29
	v_mul_f16_sdwa v19, v28, v31 dst_sel:DWORD dst_unused:UNUSED_PAD src0_sel:DWORD src1_sel:WORD_1
	v_fma_f16 v38, v68, v31, v19
	v_mul_f16_sdwa v19, v68, v31 dst_sel:DWORD dst_unused:UNUSED_PAD src0_sel:DWORD src1_sel:WORD_1
	v_fma_f16 v46, v28, v31, -v19
	v_mul_f16_sdwa v28, v51, v36 dst_sel:DWORD dst_unused:UNUSED_PAD src0_sel:DWORD src1_sel:WORD_1
	s_waitcnt lgkmcnt(0)
	v_fma_f16 v42, v17, v36, -v28
	ds_read_u16 v28, v0 offset:2016
	ds_read_u16 v68, v13
	v_mul_f16_sdwa v19, v17, v36 dst_sel:DWORD dst_unused:UNUSED_PAD src0_sel:DWORD src1_sel:WORD_1
	v_mul_f16_sdwa v17, v47, v37 dst_sel:DWORD dst_unused:UNUSED_PAD src0_sel:DWORD src1_sel:WORD_1
	v_fma_f16 v18, v45, v30, v18
	v_fma_f16 v45, v54, v37, v17
	v_mul_f16_sdwa v17, v54, v37 dst_sel:DWORD dst_unused:UNUSED_PAD src0_sel:DWORD src1_sel:WORD_1
	v_fma_f16 v47, v47, v37, -v17
	s_waitcnt vmcnt(2) lgkmcnt(1)
	v_mul_f16_sdwa v17, v28, v39 dst_sel:DWORD dst_unused:UNUSED_PAD src0_sel:DWORD src1_sel:WORD_1
	v_fma_f16 v48, v65, v39, v17
	v_mul_f16_sdwa v17, v65, v39 dst_sel:DWORD dst_unused:UNUSED_PAD src0_sel:DWORD src1_sel:WORD_1
	v_fma_f16 v50, v28, v39, -v17
	v_mul_f16_sdwa v17, v49, v40 dst_sel:DWORD dst_unused:UNUSED_PAD src0_sel:DWORD src1_sel:WORD_1
	v_fma_f16 v19, v51, v36, v19
	v_fma_f16 v51, v64, v40, v17
	v_mul_f16_sdwa v17, v64, v40 dst_sel:DWORD dst_unused:UNUSED_PAD src0_sel:DWORD src1_sel:WORD_1
	v_fma_f16 v54, v49, v40, -v17
	s_waitcnt vmcnt(0)
	v_mul_f16_sdwa v17, v52, v11 dst_sel:DWORD dst_unused:UNUSED_PAD src0_sel:DWORD src1_sel:WORD_1
	v_fma_f16 v49, v66, v11, v17
	v_mul_f16_sdwa v17, v66, v11 dst_sel:DWORD dst_unused:UNUSED_PAD src0_sel:DWORD src1_sel:WORD_1
	v_fma_f16 v52, v52, v11, -v17
	ds_read_u16 v11, v0 offset:3584
	ds_read_u16 v17, v0 offset:3808
	ds_read_u16 v53, v16
	ds_read_u16 v65, v15
	ds_read_u16 v69, v5
	ds_read_u16 v70, v6
	s_waitcnt lgkmcnt(5)
	v_mul_f16_sdwa v15, v11, v12 dst_sel:DWORD dst_unused:UNUSED_PAD src0_sel:DWORD src1_sel:WORD_1
	v_fma_f16 v56, v67, v12, v15
	v_mul_f16_sdwa v15, v67, v12 dst_sel:DWORD dst_unused:UNUSED_PAD src0_sel:DWORD src1_sel:WORD_1
	v_fma_f16 v66, v11, v12, -v15
	v_mul_f16_sdwa v11, v57, v58 dst_sel:DWORD dst_unused:UNUSED_PAD src0_sel:DWORD src1_sel:WORD_1
	v_fma_f16 v55, v72, v58, v11
	v_mul_f16_sdwa v11, v72, v58 dst_sel:DWORD dst_unused:UNUSED_PAD src0_sel:DWORD src1_sel:WORD_1
	v_fma_f16 v57, v57, v58, -v11
	s_waitcnt lgkmcnt(4)
	v_mul_f16_sdwa v11, v17, v59 dst_sel:DWORD dst_unused:UNUSED_PAD src0_sel:DWORD src1_sel:WORD_1
	v_fma_f16 v58, v73, v59, v11
	v_mul_f16_sdwa v11, v73, v59 dst_sel:DWORD dst_unused:UNUSED_PAD src0_sel:DWORD src1_sel:WORD_1
	v_fma_f16 v67, v17, v59, -v11
	v_mov_b32_e32 v11, 0x240
	v_cndmask_b32_e64 v11, 0, v11, s[0:1]
	v_add_u32_e32 v11, 0, v11
	v_add3_u32 v59, v11, v27, v14
	v_mov_b32_e32 v11, 1
	s_movk_i32 s0, 0x240
	v_lshlrev_b32_sdwa v11, v11, v43 dst_sel:DWORD dst_unused:UNUSED_PAD src0_sel:DWORD src1_sel:BYTE_0
	v_mad_u32_u24 v12, v41, s0, 0
	v_add3_u32 v60, v12, v11, v14
	v_lshlrev_b32_e32 v11, 1, v62
	v_mad_u32_u24 v12, v61, s0, 0
	v_add3_u32 v61, v12, v11, v14
	v_lshlrev_b32_e32 v11, 1, v71
	;; [unrolled: 3-line block ×3, first 2 shown]
	v_mad_u32_u24 v12, v74, s0, 0
	v_add3_u32 v63, v12, v11, v14
	v_mad_u32_u24 v11, v76, s0, 0
	v_add3_u32 v64, v11, v10, v14
	v_add_f16_e32 v10, v32, v34
	v_fma_f16 v10, v10, -0.5, v25
	v_sub_f16_e32 v11, v33, v44
	v_add_f16_e32 v25, v25, v32
	v_fma_f16 v14, v11, s10, v10
	v_fma_f16 v15, v11, s11, v10
	v_add_f16_e32 v10, v18, v38
	v_add_f16_e32 v25, v25, v34
	v_fma_f16 v10, v10, -0.5, v26
	v_sub_f16_e32 v11, v35, v46
	s_waitcnt lgkmcnt(0)
	s_barrier
	ds_write_b16 v59, v25
	ds_write_b16 v59, v14 offset:192
	ds_write_b16 v59, v15 offset:384
	v_add_f16_e32 v14, v26, v18
	v_fma_f16 v16, v11, s10, v10
	v_fma_f16 v17, v11, s11, v10
	v_add_f16_e32 v10, v19, v45
	v_add_f16_e32 v14, v14, v38
	v_fma_f16 v10, v10, -0.5, v24
	v_sub_f16_e32 v11, v42, v47
	ds_write_b16 v60, v14
	ds_write_b16 v60, v16 offset:192
	ds_write_b16 v60, v17 offset:384
	v_add_f16_e32 v14, v24, v19
	v_fma_f16 v27, v11, s10, v10
	v_fma_f16 v28, v11, s11, v10
	v_add_f16_e32 v10, v48, v51
	v_add_f16_e32 v14, v14, v45
	v_fma_f16 v10, v10, -0.5, v23
	v_sub_f16_e32 v11, v50, v54
	;; [unrolled: 10-line block ×4, first 2 shown]
	ds_write_b16 v63, v14
	ds_write_b16 v63, v31 offset:192
	v_add_f16_e32 v14, v22, v55
	v_fma_f16 v11, v36, s10, v12
	v_fma_f16 v12, v36, s11, v12
	v_add_f16_e32 v14, v14, v58
	ds_write_b16 v63, v10 offset:384
	ds_write_b16 v64, v14
	ds_write_b16 v64, v11 offset:192
	ds_write_b16 v64, v12 offset:384
	s_waitcnt lgkmcnt(0)
	s_barrier
	ds_read_u16 v24, v13
	ds_read_u16 v27, v0 offset:576
	ds_read_u16 v26, v0 offset:2304
	;; [unrolled: 1-line block ×7, first 2 shown]
	ds_read_u16 v31, v6
	ds_read_u16 v41, v0 offset:3680
	ds_read_u16 v30, v0 offset:3456
	;; [unrolled: 1-line block ×5, first 2 shown]
	v_cmp_gt_u32_e64 s[0:1], 64, v7
                                        ; implicit-def: $vgpr15
                                        ; implicit-def: $vgpr16
                                        ; implicit-def: $vgpr17
	s_and_saveexec_b64 s[6:7], s[0:1]
	s_cbranch_execz .LBB0_15
; %bb.14:
	ds_read_u16 v14, v0 offset:1024
	ds_read_u16 v11, v0 offset:1600
	;; [unrolled: 1-line block ×5, first 2 shown]
	ds_read_u16 v10, v5
	ds_read_u16 v16, v0 offset:3904
.LBB0_15:
	s_or_b64 exec, exec, s[6:7]
	v_add_f16_e32 v21, v68, v33
	v_add_f16_e32 v22, v21, v44
	v_add_f16_e32 v21, v33, v44
	v_fma_f16 v21, v21, -0.5, v68
	v_sub_f16_e32 v23, v32, v34
	v_fma_f16 v32, v23, s11, v21
	v_fma_f16 v23, v23, s10, v21
	v_add_f16_e32 v21, v70, v35
	v_add_f16_e32 v33, v21, v46
	v_add_f16_e32 v21, v35, v46
	v_fma_f16 v21, v21, -0.5, v70
	v_sub_f16_e32 v18, v18, v38
	v_fma_f16 v34, v18, s11, v21
	v_fma_f16 v35, v18, s10, v21
	;; [unrolled: 7-line block ×4, first 2 shown]
	v_add_f16_e32 v18, v53, v52
	v_add_f16_e32 v48, v18, v66
	;; [unrolled: 1-line block ×3, first 2 shown]
	v_fma_f16 v18, v18, -0.5, v53
	v_sub_f16_e32 v19, v49, v56
	v_add_f16_e32 v21, v57, v67
	v_fma_f16 v49, v19, s11, v18
	v_fma_f16 v18, v19, s10, v18
	v_add_f16_e32 v19, v20, v57
	v_fma_f16 v21, v21, -0.5, v20
	v_sub_f16_e32 v50, v55, v58
	v_add_f16_e32 v19, v19, v67
	v_fma_f16 v20, v50, s11, v21
	v_fma_f16 v21, v50, s10, v21
	s_waitcnt lgkmcnt(0)
	s_barrier
	ds_write_b16 v59, v22
	ds_write_b16 v59, v32 offset:192
	ds_write_b16 v59, v23 offset:384
	ds_write_b16 v60, v33
	ds_write_b16 v60, v34 offset:192
	ds_write_b16 v60, v35 offset:384
	;; [unrolled: 3-line block ×6, first 2 shown]
	s_waitcnt lgkmcnt(0)
	s_barrier
	ds_read_u16 v32, v13
	ds_read_u16 v34, v0 offset:576
	ds_read_u16 v33, v0 offset:2304
	;; [unrolled: 1-line block ×7, first 2 shown]
	ds_read_u16 v45, v6
	ds_read_u16 v50, v0 offset:3680
	ds_read_u16 v44, v0 offset:3456
	;; [unrolled: 1-line block ×5, first 2 shown]
                                        ; implicit-def: $vgpr13
                                        ; implicit-def: $vgpr22
                                        ; implicit-def: $vgpr23
	s_and_saveexec_b64 s[6:7], s[0:1]
	s_cbranch_execz .LBB0_17
; %bb.16:
	ds_read_u16 v19, v0 offset:1024
	ds_read_u16 v20, v0 offset:1600
	;; [unrolled: 1-line block ×5, first 2 shown]
	ds_read_u16 v18, v5
	ds_read_u16 v22, v0 offset:3904
.LBB0_17:
	s_or_b64 exec, exec, s[6:7]
	s_and_saveexec_b64 s[6:7], vcc
	s_cbranch_execz .LBB0_20
; %bb.18:
	v_mul_i32_i24_e32 v5, 6, v9
	v_mov_b32_e32 v6, 0
	v_lshlrev_b64 v[52:53], 2, v[5:6]
	v_mov_b32_e32 v0, s9
	v_add_co_u32_e32 v56, vcc, s8, v52
	v_addc_co_u32_e32 v57, vcc, v0, v53, vcc
	global_load_dwordx4 v[52:55], v[56:57], off offset:1144
	global_load_dwordx2 v[60:61], v[56:57], off offset:1160
	v_mul_u32_u24_e32 v9, 6, v7
	v_lshlrev_b32_e32 v9, 2, v9
	global_load_dwordx4 v[56:59], v9, s[8:9] offset:1144
	global_load_dwordx2 v[62:63], v9, s[8:9] offset:1160
	v_mul_lo_u32 v0, s5, v3
	v_mul_lo_u32 v5, s4, v4
	v_mad_u64_u32 v[3:4], s[4:5], s4, v3, 0
	s_mov_b32 s5, 0xb574
	s_movk_i32 s11, 0x3574
	v_add3_u32 v4, v4, v5, v0
	s_mov_b32 s6, 0xbcab
	s_mov_b32 s10, 0xbb00
	;; [unrolled: 1-line block ×3, first 2 shown]
	s_movk_i32 s13, 0x39e0
	s_mov_b32 s4, 0xb70e
	s_movk_i32 s16, 0x3a52
	s_mov_b32 s18, 0x38e38e39
	v_lshlrev_b64 v[3:4], 2, v[3:4]
	s_movk_i32 s7, 0x2b26
	s_waitcnt vmcnt(3) lgkmcnt(0)
	v_mul_f16_sdwa v9, v51, v55 dst_sel:DWORD dst_unused:UNUSED_PAD src0_sel:DWORD src1_sel:WORD_1
	v_mul_f16_sdwa v64, v47, v54 dst_sel:DWORD dst_unused:UNUSED_PAD src0_sel:DWORD src1_sel:WORD_1
	v_mul_f16_sdwa v65, v46, v53 dst_sel:DWORD dst_unused:UNUSED_PAD src0_sel:DWORD src1_sel:WORD_1
	s_waitcnt vmcnt(2)
	v_mul_f16_sdwa v66, v49, v60 dst_sel:DWORD dst_unused:UNUSED_PAD src0_sel:DWORD src1_sel:WORD_1
	v_mul_f16_sdwa v0, v48, v52 dst_sel:DWORD dst_unused:UNUSED_PAD src0_sel:DWORD src1_sel:WORD_1
	;; [unrolled: 1-line block ×9, first 2 shown]
	v_fma_f16 v9, v43, v55, v9
	v_fma_f16 v36, v36, v54, v64
	;; [unrolled: 1-line block ×6, first 2 shown]
	v_fma_f16 v40, v50, v61, -v67
	v_fma_f16 v41, v48, v52, -v68
	;; [unrolled: 1-line block ×6, first 2 shown]
	v_sub_f16_e32 v50, v9, v36
	v_sub_f16_e32 v51, v37, v39
	;; [unrolled: 1-line block ×3, first 2 shown]
	v_add_f16_e32 v52, v41, v40
	v_add_f16_e32 v53, v47, v43
	v_add_f16_e32 v54, v46, v48
	v_add_f16_e32 v0, v0, v5
	v_add_f16_e32 v5, v9, v36
	v_add_f16_e32 v9, v37, v39
	v_sub_f16_e32 v37, v47, v43
	v_add_f16_e32 v43, v50, v51
	v_sub_f16_e32 v36, v41, v40
	v_sub_f16_e32 v39, v46, v48
	;; [unrolled: 1-line block ×4, first 2 shown]
	v_add_f16_e32 v48, v52, v54
	v_add_f16_e32 v60, v0, v9
	v_add_f16_e32 v43, v49, v43
	v_sub_f16_e32 v49, v51, v49
	v_sub_f16_e32 v46, v52, v53
	;; [unrolled: 1-line block ×6, first 2 shown]
	v_add_f16_e32 v37, v37, v39
	v_mul_f16_e32 v41, 0x3846, v41
	v_add_f16_e32 v48, v53, v48
	v_add_f16_e32 v5, v5, v60
	v_mul_f16_e32 v51, 0xbb00, v49
	v_sub_f16_e32 v47, v53, v54
	v_mul_f16_e32 v65, 0x3a52, v46
	v_mul_f16_e32 v53, 0x3a52, v50
	;; [unrolled: 1-line block ×4, first 2 shown]
	v_fma_f16 v64, v40, s5, v41
	v_add_f16_e32 v45, v45, v48
	v_add_f16_e32 v31, v31, v5
	v_add_f16_e32 v37, v36, v37
	v_fma_f16 v40, v40, s11, -v51
	v_sub_f16_e32 v51, v54, v52
	v_sub_f16_e32 v0, v9, v0
	;; [unrolled: 1-line block ×3, first 2 shown]
	v_fma_f16 v48, v48, s6, v45
	v_fma_f16 v5, v5, s6, v31
	v_fma_f16 v52, v51, s12, -v65
	v_fma_f16 v9, v0, s12, -v53
	v_mul_f16_e32 v39, 0xbb00, v36
	v_fma_f16 v36, v36, s10, -v60
	v_fma_f16 v0, v0, s13, -v55
	v_mul_f16_e32 v47, 0x2b26, v47
	v_fma_f16 v50, v50, s16, v55
	v_fma_f16 v66, v61, s5, v60
	v_fma_f16 v40, v43, s4, v40
	v_add_f16_e32 v52, v52, v48
	v_fma_f16 v39, v61, s11, -v39
	v_fma_f16 v36, v37, s4, v36
	v_add_f16_e32 v0, v0, v5
	v_fma_f16 v46, v46, s16, v47
	v_add_f16_e32 v50, v50, v5
	;; [unrolled: 2-line block ×3, first 2 shown]
	v_add_f16_e32 v9, v9, v5
	v_fma_f16 v39, v37, s4, v39
	v_fma_f16 v47, v51, s13, -v47
	v_fma_f16 v41, v49, s10, -v41
	v_add_f16_e32 v37, v36, v0
	v_sub_f16_e32 v36, v0, v36
	v_sub_f16_e32 v40, v52, v40
	s_waitcnt vmcnt(1)
	v_mul_f16_sdwa v0, v34, v56 dst_sel:DWORD dst_unused:UNUSED_PAD src0_sel:DWORD src1_sel:WORD_1
	s_waitcnt vmcnt(0)
	v_mul_f16_sdwa v5, v44, v63 dst_sel:DWORD dst_unused:UNUSED_PAD src0_sel:DWORD src1_sel:WORD_1
	v_mul_f16_sdwa v52, v35, v57 dst_sel:DWORD dst_unused:UNUSED_PAD src0_sel:DWORD src1_sel:WORD_1
	v_mul_f16_sdwa v55, v42, v62 dst_sel:DWORD dst_unused:UNUSED_PAD src0_sel:DWORD src1_sel:WORD_1
	v_add_f16_e32 v46, v46, v48
	v_add_f16_e32 v47, v47, v48
	v_fma_f16 v41, v43, s4, v41
	v_fma_f16 v0, v27, v56, v0
	;; [unrolled: 1-line block ×3, first 2 shown]
	v_mul_f16_sdwa v48, v33, v59 dst_sel:DWORD dst_unused:UNUSED_PAD src0_sel:DWORD src1_sel:WORD_1
	v_mul_f16_sdwa v49, v38, v58 dst_sel:DWORD dst_unused:UNUSED_PAD src0_sel:DWORD src1_sel:WORD_1
	v_fma_f16 v52, v25, v57, v52
	v_fma_f16 v55, v29, v62, v55
	;; [unrolled: 1-line block ×3, first 2 shown]
	v_sub_f16_e32 v43, v47, v41
	v_add_f16_e32 v41, v41, v47
	v_sub_f16_e32 v47, v0, v5
	v_fma_f16 v48, v26, v59, v48
	v_fma_f16 v49, v28, v58, v49
	v_sub_f16_e32 v60, v52, v55
	v_mul_f16_sdwa v25, v25, v57 dst_sel:DWORD dst_unused:UNUSED_PAD src0_sel:DWORD src1_sel:WORD_1
	v_add_f16_e32 v0, v0, v5
	v_add_f16_e32 v52, v52, v55
	v_mul_f16_sdwa v30, v30, v63 dst_sel:DWORD dst_unused:UNUSED_PAD src0_sel:DWORD src1_sel:WORD_1
	v_mul_f16_sdwa v27, v27, v56 dst_sel:DWORD dst_unused:UNUSED_PAD src0_sel:DWORD src1_sel:WORD_1
	;; [unrolled: 1-line block ×5, first 2 shown]
	v_fma_f16 v25, v35, v57, -v25
	v_add_f16_e32 v5, v48, v49
	v_add_f16_e32 v57, v0, v52
	;; [unrolled: 1-line block ×3, first 2 shown]
	v_sub_f16_e32 v68, v50, v66
	v_sub_f16_e32 v53, v9, v39
	v_add_f16_e32 v9, v39, v9
	v_sub_f16_e32 v39, v46, v64
	v_add_f16_e32 v46, v66, v50
	v_sub_f16_e32 v50, v48, v49
	v_fma_f16 v30, v44, v63, -v30
	v_fma_f16 v27, v34, v56, -v27
	;; [unrolled: 1-line block ×5, first 2 shown]
	v_sub_f16_e32 v48, v0, v5
	v_sub_f16_e32 v55, v5, v52
	v_add_f16_e32 v5, v5, v57
	v_add_f16_e32 v33, v26, v28
	;; [unrolled: 1-line block ×4, first 2 shown]
	v_sub_f16_e32 v24, v27, v30
	v_sub_f16_e32 v26, v26, v28
	v_sub_f16_e32 v25, v25, v29
	v_add_f16_e32 v34, v27, v30
	v_sub_f16_e32 v27, v24, v26
	v_sub_f16_e32 v28, v26, v25
	v_add_f16_e32 v26, v26, v25
	v_add_f16_e32 v26, v24, v26
	v_sub_f16_e32 v24, v25, v24
	v_mul_f16_e32 v28, 0x3846, v28
	v_mul_f16_e32 v25, 0xbb00, v24
	v_fma_f16 v29, v27, s5, v28
	v_fma_f16 v25, v27, s11, -v25
	v_fma_f16 v24, v24, s10, -v28
	v_fma_f16 v29, v26, s4, v29
	v_fma_f16 v27, v26, s4, v25
	;; [unrolled: 1-line block ×3, first 2 shown]
	v_mul_hi_u32 v24, v7, s18
	v_add_f16_e32 v56, v34, v35
	v_sub_f16_e32 v38, v34, v33
	v_sub_f16_e32 v42, v33, v35
	v_add_f16_e32 v33, v33, v56
	v_mul_f16_e32 v49, 0x3a52, v48
	v_mul_f16_e32 v55, 0x2b26, v55
	v_sub_f16_e32 v0, v52, v0
	v_sub_f16_e32 v51, v47, v50
	;; [unrolled: 1-line block ×3, first 2 shown]
	v_add_f16_e32 v50, v50, v60
	v_mul_f16_e32 v44, 0x3a52, v38
	v_mul_f16_e32 v42, 0x2b26, v42
	v_add_f16_e32 v32, v32, v33
	v_fma_f16 v48, v48, s16, v55
	v_fma_f16 v5, v5, s6, v57
	v_sub_f16_e32 v34, v35, v34
	v_fma_f16 v49, v0, s12, -v49
	v_fma_f16 v0, v0, s13, -v55
	v_mul_f16_e32 v61, 0x3846, v61
	v_add_f16_e32 v50, v47, v50
	v_fma_f16 v38, v38, s16, v42
	v_fma_f16 v33, v33, s6, v32
	v_add_f16_e32 v48, v48, v5
	v_sub_f16_e32 v47, v60, v47
	v_fma_f16 v35, v34, s12, -v44
	v_add_f16_e32 v49, v49, v5
	v_fma_f16 v25, v34, s13, -v42
	v_add_f16_e32 v0, v0, v5
	v_lshrrev_b32_e32 v5, 6, v24
	v_add_f16_e32 v38, v38, v33
	v_add_f16_e32 v35, v35, v33
	;; [unrolled: 1-line block ×3, first 2 shown]
	v_fma_f16 v33, v47, s10, -v61
	v_mul_u32_u24_e32 v5, 0x120, v5
	v_fma_f16 v33, v50, s4, v33
	v_sub_u32_e32 v42, v7, v5
	v_sub_f16_e32 v34, v25, v33
	v_add_f16_e32 v33, v33, v25
	v_mad_u64_u32 v[24:25], s[16:17], s2, v42, 0
	v_fma_f16 v64, v51, s5, v61
	v_mul_f16_e32 v58, 0xbb00, v47
	v_add_f16_e32 v28, v26, v0
	v_sub_f16_e32 v47, v0, v26
	v_mov_b32_e32 v0, v25
	v_fma_f16 v64, v50, s4, v64
	v_mad_u64_u32 v[25:26], s[16:17], s3, v42, v[0:1]
	v_mov_b32_e32 v0, s15
	v_add_co_u32_e32 v5, vcc, s14, v3
	v_add_f16_e32 v56, v64, v38
	v_sub_f16_e32 v26, v38, v64
	v_addc_co_u32_e32 v4, vcc, v0, v4, vcc
	v_lshlrev_b64 v[0:1], 2, v[1:2]
	v_add_u32_e32 v38, 0x120, v42
	v_mad_u64_u32 v[2:3], s[14:15], s2, v38, 0
	v_add_co_u32_e32 v0, vcc, v5, v0
	v_addc_co_u32_e32 v1, vcc, v4, v1, vcc
	v_lshlrev_b64 v[4:5], 2, v[24:25]
	v_sub_f16_e32 v30, v48, v29
	v_mad_u64_u32 v[24:25], s[14:15], s3, v38, v[3:4]
	v_add_co_u32_e32 v3, vcc, v0, v4
	v_addc_co_u32_e32 v4, vcc, v1, v5, vcc
	v_pack_b32_f16 v5, v57, v32
	global_store_dword v[3:4], v5, off
	v_mov_b32_e32 v3, v24
	v_add_u32_e32 v24, 0x240, v42
	v_mad_u64_u32 v[4:5], s[14:15], s2, v24, 0
	v_add_f16_e32 v29, v29, v48
	v_add_u32_e32 v32, 0x360, v42
	v_mad_u64_u32 v[24:25], s[14:15], s3, v24, v[5:6]
	v_lshlrev_b64 v[2:3], 2, v[2:3]
	v_pack_b32_f16 v29, v29, v26
	v_mad_u64_u32 v[25:26], s[14:15], s2, v32, 0
	v_add_co_u32_e32 v2, vcc, v0, v2
	v_addc_co_u32_e32 v3, vcc, v1, v3, vcc
	v_mov_b32_e32 v5, v24
	global_store_dword v[2:3], v29, off
	v_lshlrev_b64 v[2:3], 2, v[4:5]
	v_mov_b32_e32 v4, v26
	v_fma_f16 v51, v51, s11, -v58
	v_mad_u64_u32 v[4:5], s[14:15], s3, v32, v[4:5]
	v_fma_f16 v51, v50, s4, v51
	v_add_f16_e32 v44, v51, v35
	v_sub_f16_e32 v52, v49, v27
	v_sub_f16_e32 v35, v35, v51
	v_add_f16_e32 v27, v27, v49
	v_add_co_u32_e32 v2, vcc, v0, v2
	v_addc_co_u32_e32 v3, vcc, v1, v3, vcc
	v_pack_b32_f16 v5, v27, v35
	v_add_u32_e32 v24, 0x480, v42
	global_store_dword v[2:3], v5, off
	v_mov_b32_e32 v26, v4
	v_mad_u64_u32 v[4:5], s[14:15], s2, v24, 0
	v_lshlrev_b64 v[2:3], 2, v[25:26]
	v_add_u32_e32 v29, 0x5a0, v42
	v_mad_u64_u32 v[24:25], s[14:15], s3, v24, v[5:6]
	v_mad_u64_u32 v[25:26], s[14:15], s2, v29, 0
	v_add_co_u32_e32 v2, vcc, v0, v2
	v_addc_co_u32_e32 v3, vcc, v1, v3, vcc
	v_pack_b32_f16 v27, v47, v33
	v_mov_b32_e32 v5, v24
	global_store_dword v[2:3], v27, off
	v_lshlrev_b64 v[2:3], 2, v[4:5]
	v_mov_b32_e32 v4, v26
	v_mad_u64_u32 v[4:5], s[14:15], s3, v29, v[4:5]
	v_add_co_u32_e32 v2, vcc, v0, v2
	v_addc_co_u32_e32 v3, vcc, v1, v3, vcc
	v_pack_b32_f16 v5, v28, v34
	v_mov_b32_e32 v26, v4
	global_store_dword v[2:3], v5, off
	v_lshlrev_b64 v[2:3], 2, v[25:26]
	v_add_u32_e32 v24, 0x6c0, v42
	v_add_u32_e32 v26, 0x70, v7
	v_mad_u64_u32 v[4:5], s[14:15], s2, v24, 0
	v_mul_hi_u32 v28, v26, s18
	v_add_co_u32_e32 v2, vcc, v0, v2
	v_mad_u64_u32 v[24:25], s[14:15], s3, v24, v[5:6]
	v_lshrrev_b32_e32 v5, 6, v28
	v_mul_u32_u24_e32 v25, 0x120, v5
	v_sub_u32_e32 v25, v26, v25
	s_movk_i32 s14, 0x7e0
	v_mad_u32_u24 v28, v5, s14, v25
	v_mad_u64_u32 v[25:26], s[14:15], s2, v28, 0
	v_addc_co_u32_e32 v3, vcc, v1, v3, vcc
	v_pack_b32_f16 v27, v52, v44
	v_mov_b32_e32 v5, v24
	global_store_dword v[2:3], v27, off
	v_lshlrev_b64 v[2:3], 2, v[4:5]
	v_mov_b32_e32 v4, v26
	v_mad_u64_u32 v[4:5], s[14:15], s3, v28, v[4:5]
	v_add_co_u32_e32 v2, vcc, v0, v2
	v_addc_co_u32_e32 v3, vcc, v1, v3, vcc
	v_pack_b32_f16 v5, v30, v56
	v_add_u32_e32 v24, 0x120, v28
	global_store_dword v[2:3], v5, off
	v_mov_b32_e32 v26, v4
	v_mad_u64_u32 v[4:5], s[14:15], s2, v24, 0
	v_lshlrev_b64 v[2:3], 2, v[25:26]
	v_add_u32_e32 v29, 0x240, v28
	v_mad_u64_u32 v[24:25], s[14:15], s3, v24, v[5:6]
	v_mad_u64_u32 v[25:26], s[14:15], s2, v29, 0
	v_add_co_u32_e32 v2, vcc, v0, v2
	v_addc_co_u32_e32 v3, vcc, v1, v3, vcc
	v_pack_b32_f16 v27, v31, v45
	v_mov_b32_e32 v5, v24
	global_store_dword v[2:3], v27, off
	v_lshlrev_b64 v[2:3], 2, v[4:5]
	v_mov_b32_e32 v4, v26
	v_mad_u64_u32 v[4:5], s[14:15], s3, v29, v[4:5]
	v_add_co_u32_e32 v2, vcc, v0, v2
	v_addc_co_u32_e32 v3, vcc, v1, v3, vcc
	v_pack_b32_f16 v5, v46, v39
	v_add_u32_e32 v24, 0x360, v28
	global_store_dword v[2:3], v5, off
	v_mov_b32_e32 v26, v4
	v_mad_u64_u32 v[4:5], s[14:15], s2, v24, 0
	v_lshlrev_b64 v[2:3], 2, v[25:26]
	v_add_u32_e32 v27, 0x480, v28
	v_mad_u64_u32 v[24:25], s[14:15], s3, v24, v[5:6]
	v_mad_u64_u32 v[25:26], s[14:15], s2, v27, 0
	v_add_co_u32_e32 v2, vcc, v0, v2
	v_addc_co_u32_e32 v3, vcc, v1, v3, vcc
	v_pack_b32_f16 v9, v9, v40
	v_mov_b32_e32 v5, v24
	global_store_dword v[2:3], v9, off
	v_lshlrev_b64 v[2:3], 2, v[4:5]
	v_mov_b32_e32 v4, v26
	v_mad_u64_u32 v[4:5], s[14:15], s3, v27, v[4:5]
	v_add_co_u32_e32 v2, vcc, v0, v2
	v_addc_co_u32_e32 v3, vcc, v1, v3, vcc
	v_pack_b32_f16 v5, v36, v41
	v_add_u32_e32 v9, 0x5a0, v28
	global_store_dword v[2:3], v5, off
	v_mov_b32_e32 v26, v4
	v_mad_u64_u32 v[4:5], s[14:15], s2, v9, 0
	v_lshlrev_b64 v[2:3], 2, v[25:26]
	v_pack_b32_f16 v27, v37, v43
	v_mad_u64_u32 v[24:25], s[14:15], s3, v9, v[5:6]
	v_add_u32_e32 v9, 0x6c0, v28
	v_mad_u64_u32 v[25:26], s[14:15], s2, v9, 0
	v_add_co_u32_e32 v2, vcc, v0, v2
	v_addc_co_u32_e32 v3, vcc, v1, v3, vcc
	v_mov_b32_e32 v5, v24
	global_store_dword v[2:3], v27, off
	v_lshlrev_b64 v[2:3], 2, v[4:5]
	v_mov_b32_e32 v4, v26
	v_mad_u64_u32 v[4:5], s[14:15], s3, v9, v[4:5]
	v_add_co_u32_e32 v2, vcc, v0, v2
	v_addc_co_u32_e32 v3, vcc, v1, v3, vcc
	v_pack_b32_f16 v5, v53, v54
	v_mov_b32_e32 v26, v4
	global_store_dword v[2:3], v5, off
	v_lshlrev_b64 v[2:3], 2, v[25:26]
	v_pack_b32_f16 v4, v68, v67
	v_add_co_u32_e32 v2, vcc, v0, v2
	v_addc_co_u32_e32 v3, vcc, v1, v3, vcc
	s_movk_i32 s16, 0x120
	global_store_dword v[2:3], v4, off
	v_add_u32_e32 v2, 0xe0, v7
	v_cmp_gt_u32_e32 vcc, s16, v2
	s_and_b64 exec, exec, vcc
	s_cbranch_execz .LBB0_20
; %bb.19:
	v_subrev_u32_e32 v3, 64, v7
	v_cndmask_b32_e64 v3, v3, v8, s[0:1]
	v_mul_i32_i24_e32 v5, 6, v3
	v_lshlrev_b64 v[3:4], 2, v[5:6]
	v_mov_b32_e32 v5, s9
	v_add_co_u32_e32 v8, vcc, s8, v3
	v_addc_co_u32_e32 v9, vcc, v5, v4, vcc
	global_load_dwordx4 v[3:6], v[8:9], off offset:1144
	global_load_dwordx2 v[24:25], v[8:9], off offset:1160
	s_waitcnt vmcnt(1)
	v_mul_f16_sdwa v8, v19, v3 dst_sel:DWORD dst_unused:UNUSED_PAD src0_sel:DWORD src1_sel:WORD_1
	v_mul_f16_sdwa v9, v14, v3 dst_sel:DWORD dst_unused:UNUSED_PAD src0_sel:DWORD src1_sel:WORD_1
	;; [unrolled: 1-line block ×7, first 2 shown]
	s_waitcnt vmcnt(0)
	v_mul_f16_sdwa v32, v23, v24 dst_sel:DWORD dst_unused:UNUSED_PAD src0_sel:DWORD src1_sel:WORD_1
	v_mul_f16_sdwa v33, v17, v24 dst_sel:DWORD dst_unused:UNUSED_PAD src0_sel:DWORD src1_sel:WORD_1
	;; [unrolled: 1-line block ×5, first 2 shown]
	v_fma_f16 v8, v14, v3, v8
	v_fma_f16 v3, v19, v3, -v9
	v_fma_f16 v9, v11, v4, v26
	v_fma_f16 v4, v20, v4, -v27
	v_fma_f16 v11, v12, v5, v28
	v_fma_f16 v12, v15, v6, v30
	v_fma_f16 v6, v13, v6, -v31
	v_fma_f16 v13, v17, v24, v32
	v_fma_f16 v14, v23, v24, -v33
	;; [unrolled: 2-line block ×3, first 2 shown]
	v_fma_f16 v5, v21, v5, -v29
	v_add_f16_e32 v17, v8, v15
	v_add_f16_e32 v19, v3, v16
	v_sub_f16_e32 v8, v8, v15
	v_sub_f16_e32 v3, v3, v16
	v_add_f16_e32 v15, v9, v13
	v_add_f16_e32 v16, v4, v14
	v_sub_f16_e32 v9, v9, v13
	v_sub_f16_e32 v4, v4, v14
	v_add_f16_e32 v13, v11, v12
	v_add_f16_e32 v14, v5, v6
	v_sub_f16_e32 v11, v12, v11
	v_sub_f16_e32 v5, v6, v5
	v_add_f16_e32 v6, v15, v17
	v_add_f16_e32 v12, v16, v19
	v_sub_f16_e32 v20, v15, v17
	v_sub_f16_e32 v21, v16, v19
	v_sub_f16_e32 v17, v17, v13
	v_sub_f16_e32 v19, v19, v14
	;; [unrolled: 1-line block ×4, first 2 shown]
	v_add_f16_e32 v22, v11, v9
	v_add_f16_e32 v23, v5, v4
	v_sub_f16_e32 v24, v11, v9
	v_sub_f16_e32 v25, v5, v4
	;; [unrolled: 1-line block ×3, first 2 shown]
	v_add_f16_e32 v6, v13, v6
	v_add_f16_e32 v12, v14, v12
	v_sub_f16_e32 v11, v8, v11
	v_sub_f16_e32 v5, v3, v5
	v_sub_f16_e32 v9, v9, v8
	v_add_f16_e32 v8, v22, v8
	v_add_f16_e32 v3, v23, v3
	v_mul_f16_e32 v13, 0x3a52, v17
	v_mul_f16_e32 v14, 0x3a52, v19
	;; [unrolled: 1-line block ×7, first 2 shown]
	v_add_f16_e32 v10, v10, v6
	v_add_f16_e32 v18, v18, v12
	v_fma_f16 v15, v15, s7, v13
	v_fma_f16 v16, v16, s7, v14
	v_fma_f16 v17, v20, s13, -v17
	v_fma_f16 v19, v21, s13, -v19
	;; [unrolled: 1-line block ×4, first 2 shown]
	v_fma_f16 v20, v11, s5, v22
	v_fma_f16 v21, v5, s5, v23
	v_fma_f16 v4, v4, s10, -v23
	v_fma_f16 v5, v5, s11, -v25
	v_fma_f16 v6, v6, s6, v10
	v_fma_f16 v12, v12, s6, v18
	v_add_f16_e32 v15, v15, v6
	v_add_f16_e32 v16, v16, v12
	v_add_f16_e32 v17, v17, v6
	v_add_f16_e32 v19, v19, v12
	v_add_f16_e32 v6, v13, v6
	v_add_f16_e32 v12, v14, v12
	v_fma_f16 v13, v8, s4, v20
	v_fma_f16 v14, v3, s4, v21
	v_fma_f16 v20, v3, s4, v4
	v_fma_f16 v5, v3, s4, v5
	v_mad_u64_u32 v[3:4], s[0:1], s2, v2, 0
	v_mul_f16_e32 v24, 0xbb00, v9
	v_fma_f16 v9, v9, s10, -v22
	v_fma_f16 v11, v11, s11, -v24
	v_add_f16_e32 v22, v5, v6
	v_sub_f16_e32 v24, v17, v20
	v_add_f16_e32 v17, v20, v17
	v_sub_f16_e32 v20, v6, v5
	v_mad_u64_u32 v[4:5], s[0:1], s3, v2, v[4:5]
	v_add_u32_e32 v6, 0x200, v7
	v_fma_f16 v9, v8, s4, v9
	v_lshlrev_b64 v[2:3], 2, v[3:4]
	v_mad_u64_u32 v[4:5], s[0:1], s2, v6, 0
	v_fma_f16 v8, v8, s4, v11
	v_sub_f16_e32 v23, v12, v8
	v_mad_u64_u32 v[5:6], s[0:1], s3, v6, v[5:6]
	v_add_u32_e32 v6, 0x320, v7
	v_add_f16_e32 v25, v9, v19
	v_sub_f16_e32 v19, v19, v9
	v_add_f16_e32 v12, v8, v12
	v_mad_u64_u32 v[8:9], s[0:1], s2, v6, 0
	v_add_co_u32_e32 v2, vcc, v0, v2
	v_addc_co_u32_e32 v3, vcc, v1, v3, vcc
	v_pack_b32_f16 v10, v10, v18
	global_store_dword v[2:3], v10, off
	v_lshlrev_b64 v[2:3], 2, v[4:5]
	v_mov_b32_e32 v4, v9
	v_mad_u64_u32 v[4:5], s[0:1], s3, v6, v[4:5]
	v_add_f16_e32 v11, v14, v15
	v_sub_f16_e32 v21, v16, v13
	v_add_co_u32_e32 v2, vcc, v0, v2
	v_addc_co_u32_e32 v3, vcc, v1, v3, vcc
	v_pack_b32_f16 v5, v11, v21
	v_add_u32_e32 v6, 0x440, v7
	global_store_dword v[2:3], v5, off
	v_mov_b32_e32 v9, v4
	v_mad_u64_u32 v[4:5], s[0:1], s2, v6, 0
	v_lshlrev_b64 v[2:3], 2, v[8:9]
	v_pack_b32_f16 v10, v22, v23
	v_mad_u64_u32 v[5:6], s[0:1], s3, v6, v[5:6]
	v_add_u32_e32 v6, 0x560, v7
	v_mad_u64_u32 v[8:9], s[0:1], s2, v6, 0
	v_add_co_u32_e32 v2, vcc, v0, v2
	v_addc_co_u32_e32 v3, vcc, v1, v3, vcc
	global_store_dword v[2:3], v10, off
	v_lshlrev_b64 v[2:3], 2, v[4:5]
	v_mov_b32_e32 v4, v9
	v_mad_u64_u32 v[4:5], s[0:1], s3, v6, v[4:5]
	v_add_co_u32_e32 v2, vcc, v0, v2
	v_addc_co_u32_e32 v3, vcc, v1, v3, vcc
	v_pack_b32_f16 v5, v24, v25
	v_add_u32_e32 v6, 0x680, v7
	global_store_dword v[2:3], v5, off
	v_mov_b32_e32 v9, v4
	v_mad_u64_u32 v[4:5], s[0:1], s2, v6, 0
	v_lshlrev_b64 v[2:3], 2, v[8:9]
	v_add_u32_e32 v9, 0x7a0, v7
	v_mad_u64_u32 v[5:6], s[0:1], s3, v6, v[5:6]
	v_mad_u64_u32 v[6:7], s[0:1], s2, v9, 0
	v_add_co_u32_e32 v2, vcc, v0, v2
	v_addc_co_u32_e32 v3, vcc, v1, v3, vcc
	v_pack_b32_f16 v8, v17, v19
	global_store_dword v[2:3], v8, off
	v_lshlrev_b64 v[2:3], 2, v[4:5]
	v_mov_b32_e32 v4, v7
	v_mad_u64_u32 v[4:5], s[0:1], s3, v9, v[4:5]
	v_add_co_u32_e32 v2, vcc, v0, v2
	v_addc_co_u32_e32 v3, vcc, v1, v3, vcc
	v_pack_b32_f16 v5, v20, v12
	v_mov_b32_e32 v7, v4
	global_store_dword v[2:3], v5, off
	v_lshlrev_b64 v[2:3], 2, v[6:7]
	v_sub_f16_e32 v14, v15, v14
	v_add_f16_e32 v13, v13, v16
	v_add_co_u32_e32 v0, vcc, v0, v2
	v_addc_co_u32_e32 v1, vcc, v1, v3, vcc
	v_pack_b32_f16 v2, v14, v13
	global_store_dword v[0:1], v2, off
.LBB0_20:
	s_endpgm
	.section	.rodata,"a",@progbits
	.p2align	6, 0x0
	.amdhsa_kernel fft_rtc_back_len2016_factors_2_2_2_2_2_3_3_7_wgs_224_tpt_112_halfLds_half_op_CI_CI_sbrr_dirReg
		.amdhsa_group_segment_fixed_size 0
		.amdhsa_private_segment_fixed_size 0
		.amdhsa_kernarg_size 104
		.amdhsa_user_sgpr_count 6
		.amdhsa_user_sgpr_private_segment_buffer 1
		.amdhsa_user_sgpr_dispatch_ptr 0
		.amdhsa_user_sgpr_queue_ptr 0
		.amdhsa_user_sgpr_kernarg_segment_ptr 1
		.amdhsa_user_sgpr_dispatch_id 0
		.amdhsa_user_sgpr_flat_scratch_init 0
		.amdhsa_user_sgpr_private_segment_size 0
		.amdhsa_uses_dynamic_stack 0
		.amdhsa_system_sgpr_private_segment_wavefront_offset 0
		.amdhsa_system_sgpr_workgroup_id_x 1
		.amdhsa_system_sgpr_workgroup_id_y 0
		.amdhsa_system_sgpr_workgroup_id_z 0
		.amdhsa_system_sgpr_workgroup_info 0
		.amdhsa_system_vgpr_workitem_id 0
		.amdhsa_next_free_vgpr 77
		.amdhsa_next_free_sgpr 32
		.amdhsa_reserve_vcc 1
		.amdhsa_reserve_flat_scratch 0
		.amdhsa_float_round_mode_32 0
		.amdhsa_float_round_mode_16_64 0
		.amdhsa_float_denorm_mode_32 3
		.amdhsa_float_denorm_mode_16_64 3
		.amdhsa_dx10_clamp 1
		.amdhsa_ieee_mode 1
		.amdhsa_fp16_overflow 0
		.amdhsa_exception_fp_ieee_invalid_op 0
		.amdhsa_exception_fp_denorm_src 0
		.amdhsa_exception_fp_ieee_div_zero 0
		.amdhsa_exception_fp_ieee_overflow 0
		.amdhsa_exception_fp_ieee_underflow 0
		.amdhsa_exception_fp_ieee_inexact 0
		.amdhsa_exception_int_div_zero 0
	.end_amdhsa_kernel
	.text
.Lfunc_end0:
	.size	fft_rtc_back_len2016_factors_2_2_2_2_2_3_3_7_wgs_224_tpt_112_halfLds_half_op_CI_CI_sbrr_dirReg, .Lfunc_end0-fft_rtc_back_len2016_factors_2_2_2_2_2_3_3_7_wgs_224_tpt_112_halfLds_half_op_CI_CI_sbrr_dirReg
                                        ; -- End function
	.section	.AMDGPU.csdata,"",@progbits
; Kernel info:
; codeLenInByte = 16232
; NumSgprs: 36
; NumVgprs: 77
; ScratchSize: 0
; MemoryBound: 0
; FloatMode: 240
; IeeeMode: 1
; LDSByteSize: 0 bytes/workgroup (compile time only)
; SGPRBlocks: 4
; VGPRBlocks: 19
; NumSGPRsForWavesPerEU: 36
; NumVGPRsForWavesPerEU: 77
; Occupancy: 3
; WaveLimiterHint : 1
; COMPUTE_PGM_RSRC2:SCRATCH_EN: 0
; COMPUTE_PGM_RSRC2:USER_SGPR: 6
; COMPUTE_PGM_RSRC2:TRAP_HANDLER: 0
; COMPUTE_PGM_RSRC2:TGID_X_EN: 1
; COMPUTE_PGM_RSRC2:TGID_Y_EN: 0
; COMPUTE_PGM_RSRC2:TGID_Z_EN: 0
; COMPUTE_PGM_RSRC2:TIDIG_COMP_CNT: 0
	.type	__hip_cuid_45cafc17c98c6eb8,@object ; @__hip_cuid_45cafc17c98c6eb8
	.section	.bss,"aw",@nobits
	.globl	__hip_cuid_45cafc17c98c6eb8
__hip_cuid_45cafc17c98c6eb8:
	.byte	0                               ; 0x0
	.size	__hip_cuid_45cafc17c98c6eb8, 1

	.ident	"AMD clang version 19.0.0git (https://github.com/RadeonOpenCompute/llvm-project roc-6.4.0 25133 c7fe45cf4b819c5991fe208aaa96edf142730f1d)"
	.section	".note.GNU-stack","",@progbits
	.addrsig
	.addrsig_sym __hip_cuid_45cafc17c98c6eb8
	.amdgpu_metadata
---
amdhsa.kernels:
  - .args:
      - .actual_access:  read_only
        .address_space:  global
        .offset:         0
        .size:           8
        .value_kind:     global_buffer
      - .offset:         8
        .size:           8
        .value_kind:     by_value
      - .actual_access:  read_only
        .address_space:  global
        .offset:         16
        .size:           8
        .value_kind:     global_buffer
      - .actual_access:  read_only
        .address_space:  global
        .offset:         24
        .size:           8
        .value_kind:     global_buffer
      - .actual_access:  read_only
        .address_space:  global
        .offset:         32
        .size:           8
        .value_kind:     global_buffer
      - .offset:         40
        .size:           8
        .value_kind:     by_value
      - .actual_access:  read_only
        .address_space:  global
        .offset:         48
        .size:           8
        .value_kind:     global_buffer
      - .actual_access:  read_only
        .address_space:  global
        .offset:         56
        .size:           8
        .value_kind:     global_buffer
      - .offset:         64
        .size:           4
        .value_kind:     by_value
      - .actual_access:  read_only
        .address_space:  global
        .offset:         72
        .size:           8
        .value_kind:     global_buffer
      - .actual_access:  read_only
        .address_space:  global
        .offset:         80
        .size:           8
        .value_kind:     global_buffer
      - .actual_access:  read_only
        .address_space:  global
        .offset:         88
        .size:           8
        .value_kind:     global_buffer
      - .actual_access:  write_only
        .address_space:  global
        .offset:         96
        .size:           8
        .value_kind:     global_buffer
    .group_segment_fixed_size: 0
    .kernarg_segment_align: 8
    .kernarg_segment_size: 104
    .language:       OpenCL C
    .language_version:
      - 2
      - 0
    .max_flat_workgroup_size: 224
    .name:           fft_rtc_back_len2016_factors_2_2_2_2_2_3_3_7_wgs_224_tpt_112_halfLds_half_op_CI_CI_sbrr_dirReg
    .private_segment_fixed_size: 0
    .sgpr_count:     36
    .sgpr_spill_count: 0
    .symbol:         fft_rtc_back_len2016_factors_2_2_2_2_2_3_3_7_wgs_224_tpt_112_halfLds_half_op_CI_CI_sbrr_dirReg.kd
    .uniform_work_group_size: 1
    .uses_dynamic_stack: false
    .vgpr_count:     77
    .vgpr_spill_count: 0
    .wavefront_size: 64
amdhsa.target:   amdgcn-amd-amdhsa--gfx906
amdhsa.version:
  - 1
  - 2
...

	.end_amdgpu_metadata
